;; amdgpu-corpus repo=ROCm/rocFFT kind=compiled arch=gfx1030 opt=O3
	.text
	.amdgcn_target "amdgcn-amd-amdhsa--gfx1030"
	.amdhsa_code_object_version 6
	.protected	fft_rtc_fwd_len289_factors_17_17_wgs_119_tpt_17_halfLds_dp_op_CI_CI_sbrr_dirReg ; -- Begin function fft_rtc_fwd_len289_factors_17_17_wgs_119_tpt_17_halfLds_dp_op_CI_CI_sbrr_dirReg
	.globl	fft_rtc_fwd_len289_factors_17_17_wgs_119_tpt_17_halfLds_dp_op_CI_CI_sbrr_dirReg
	.p2align	8
	.type	fft_rtc_fwd_len289_factors_17_17_wgs_119_tpt_17_halfLds_dp_op_CI_CI_sbrr_dirReg,@function
fft_rtc_fwd_len289_factors_17_17_wgs_119_tpt_17_halfLds_dp_op_CI_CI_sbrr_dirReg: ; @fft_rtc_fwd_len289_factors_17_17_wgs_119_tpt_17_halfLds_dp_op_CI_CI_sbrr_dirReg
; %bb.0:
	s_clause 0x1
	s_load_dwordx4 s[16:19], s[4:5], 0x18
	s_load_dwordx4 s[12:15], s[4:5], 0x0
	v_mul_u32_u24_e32 v1, 0xf10, v0
	v_mov_b32_e32 v4, 0
	v_mov_b32_e32 v5, 0
	s_load_dwordx4 s[8:11], s[4:5], 0x58
	s_waitcnt lgkmcnt(0)
	s_load_dwordx2 s[20:21], s[16:17], 0x0
	s_load_dwordx2 s[2:3], s[18:19], 0x0
	v_lshrrev_b32_e32 v2, 16, v1
	v_mov_b32_e32 v1, 0
	v_cmp_lt_u64_e64 s0, s[14:15], 2
	v_mov_b32_e32 v69, v5
	v_mov_b32_e32 v68, v4
	v_mad_u64_u32 v[72:73], null, s6, 7, v[2:3]
	v_mov_b32_e32 v73, v1
	s_and_b32 vcc_lo, exec_lo, s0
	v_mov_b32_e32 v70, v72
	v_mov_b32_e32 v71, v73
	s_cbranch_vccnz .LBB0_8
; %bb.1:
	s_load_dwordx2 s[0:1], s[4:5], 0x10
	v_mov_b32_e32 v4, 0
	v_mov_b32_e32 v5, 0
	s_add_u32 s6, s18, 8
	v_mov_b32_e32 v6, v72
	s_addc_u32 s7, s19, 0
	v_mov_b32_e32 v7, v73
	v_mov_b32_e32 v69, v5
	s_add_u32 s22, s16, 8
	v_mov_b32_e32 v68, v4
	s_addc_u32 s23, s17, 0
	s_mov_b64 s[26:27], 1
	s_waitcnt lgkmcnt(0)
	s_add_u32 s24, s0, 8
	s_addc_u32 s25, s1, 0
.LBB0_2:                                ; =>This Inner Loop Header: Depth=1
	s_load_dwordx2 s[28:29], s[24:25], 0x0
                                        ; implicit-def: $vgpr70_vgpr71
	s_mov_b32 s0, exec_lo
	s_waitcnt lgkmcnt(0)
	v_or_b32_e32 v2, s29, v7
	v_cmpx_ne_u64_e32 0, v[1:2]
	s_xor_b32 s1, exec_lo, s0
	s_cbranch_execz .LBB0_4
; %bb.3:                                ;   in Loop: Header=BB0_2 Depth=1
	v_cvt_f32_u32_e32 v2, s28
	v_cvt_f32_u32_e32 v3, s29
	s_sub_u32 s0, 0, s28
	s_subb_u32 s30, 0, s29
	v_fmac_f32_e32 v2, 0x4f800000, v3
	v_rcp_f32_e32 v2, v2
	v_mul_f32_e32 v2, 0x5f7ffffc, v2
	v_mul_f32_e32 v3, 0x2f800000, v2
	v_trunc_f32_e32 v3, v3
	v_fmac_f32_e32 v2, 0xcf800000, v3
	v_cvt_u32_f32_e32 v3, v3
	v_cvt_u32_f32_e32 v2, v2
	v_mul_lo_u32 v8, s0, v3
	v_mul_hi_u32 v9, s0, v2
	v_mul_lo_u32 v10, s30, v2
	v_add_nc_u32_e32 v8, v9, v8
	v_mul_lo_u32 v9, s0, v2
	v_add_nc_u32_e32 v8, v8, v10
	v_mul_hi_u32 v10, v2, v9
	v_mul_lo_u32 v11, v2, v8
	v_mul_hi_u32 v12, v2, v8
	v_mul_hi_u32 v13, v3, v9
	v_mul_lo_u32 v9, v3, v9
	v_mul_hi_u32 v14, v3, v8
	v_mul_lo_u32 v8, v3, v8
	v_add_co_u32 v10, vcc_lo, v10, v11
	v_add_co_ci_u32_e32 v11, vcc_lo, 0, v12, vcc_lo
	v_add_co_u32 v9, vcc_lo, v10, v9
	v_add_co_ci_u32_e32 v9, vcc_lo, v11, v13, vcc_lo
	v_add_co_ci_u32_e32 v10, vcc_lo, 0, v14, vcc_lo
	v_add_co_u32 v8, vcc_lo, v9, v8
	v_add_co_ci_u32_e32 v9, vcc_lo, 0, v10, vcc_lo
	v_add_co_u32 v2, vcc_lo, v2, v8
	v_add_co_ci_u32_e32 v3, vcc_lo, v3, v9, vcc_lo
	v_mul_hi_u32 v8, s0, v2
	v_mul_lo_u32 v10, s30, v2
	v_mul_lo_u32 v9, s0, v3
	v_add_nc_u32_e32 v8, v8, v9
	v_mul_lo_u32 v9, s0, v2
	v_add_nc_u32_e32 v8, v8, v10
	v_mul_hi_u32 v10, v2, v9
	v_mul_lo_u32 v11, v2, v8
	v_mul_hi_u32 v12, v2, v8
	v_mul_hi_u32 v13, v3, v9
	v_mul_lo_u32 v9, v3, v9
	v_mul_hi_u32 v14, v3, v8
	v_mul_lo_u32 v8, v3, v8
	v_add_co_u32 v10, vcc_lo, v10, v11
	v_add_co_ci_u32_e32 v11, vcc_lo, 0, v12, vcc_lo
	v_add_co_u32 v9, vcc_lo, v10, v9
	v_add_co_ci_u32_e32 v9, vcc_lo, v11, v13, vcc_lo
	v_add_co_ci_u32_e32 v10, vcc_lo, 0, v14, vcc_lo
	v_add_co_u32 v8, vcc_lo, v9, v8
	v_add_co_ci_u32_e32 v9, vcc_lo, 0, v10, vcc_lo
	v_add_co_u32 v8, vcc_lo, v2, v8
	v_add_co_ci_u32_e32 v10, vcc_lo, v3, v9, vcc_lo
	v_mul_hi_u32 v12, v6, v8
	v_mad_u64_u32 v[8:9], null, v7, v8, 0
	v_mad_u64_u32 v[2:3], null, v6, v10, 0
	v_mad_u64_u32 v[10:11], null, v7, v10, 0
	v_add_co_u32 v2, vcc_lo, v12, v2
	v_add_co_ci_u32_e32 v3, vcc_lo, 0, v3, vcc_lo
	v_add_co_u32 v2, vcc_lo, v2, v8
	v_add_co_ci_u32_e32 v2, vcc_lo, v3, v9, vcc_lo
	v_add_co_ci_u32_e32 v3, vcc_lo, 0, v11, vcc_lo
	v_add_co_u32 v8, vcc_lo, v2, v10
	v_add_co_ci_u32_e32 v9, vcc_lo, 0, v3, vcc_lo
	v_mul_lo_u32 v10, s29, v8
	v_mad_u64_u32 v[2:3], null, s28, v8, 0
	v_mul_lo_u32 v11, s28, v9
	v_sub_co_u32 v2, vcc_lo, v6, v2
	v_add3_u32 v3, v3, v11, v10
	v_sub_nc_u32_e32 v10, v7, v3
	v_subrev_co_ci_u32_e64 v10, s0, s29, v10, vcc_lo
	v_add_co_u32 v11, s0, v8, 2
	v_add_co_ci_u32_e64 v12, s0, 0, v9, s0
	v_sub_co_u32 v13, s0, v2, s28
	v_sub_co_ci_u32_e32 v3, vcc_lo, v7, v3, vcc_lo
	v_subrev_co_ci_u32_e64 v10, s0, 0, v10, s0
	v_cmp_le_u32_e32 vcc_lo, s28, v13
	v_cmp_eq_u32_e64 s0, s29, v3
	v_cndmask_b32_e64 v13, 0, -1, vcc_lo
	v_cmp_le_u32_e32 vcc_lo, s29, v10
	v_cndmask_b32_e64 v14, 0, -1, vcc_lo
	v_cmp_le_u32_e32 vcc_lo, s28, v2
	;; [unrolled: 2-line block ×3, first 2 shown]
	v_cndmask_b32_e64 v15, 0, -1, vcc_lo
	v_cmp_eq_u32_e32 vcc_lo, s29, v10
	v_cndmask_b32_e64 v2, v15, v2, s0
	v_cndmask_b32_e32 v10, v14, v13, vcc_lo
	v_add_co_u32 v13, vcc_lo, v8, 1
	v_add_co_ci_u32_e32 v14, vcc_lo, 0, v9, vcc_lo
	v_cmp_ne_u32_e32 vcc_lo, 0, v10
	v_cndmask_b32_e32 v3, v14, v12, vcc_lo
	v_cndmask_b32_e32 v10, v13, v11, vcc_lo
	v_cmp_ne_u32_e32 vcc_lo, 0, v2
	v_cndmask_b32_e32 v71, v9, v3, vcc_lo
	v_cndmask_b32_e32 v70, v8, v10, vcc_lo
.LBB0_4:                                ;   in Loop: Header=BB0_2 Depth=1
	s_andn2_saveexec_b32 s0, s1
	s_cbranch_execz .LBB0_6
; %bb.5:                                ;   in Loop: Header=BB0_2 Depth=1
	v_cvt_f32_u32_e32 v2, s28
	s_sub_i32 s1, 0, s28
	v_mov_b32_e32 v71, v1
	v_rcp_iflag_f32_e32 v2, v2
	v_mul_f32_e32 v2, 0x4f7ffffe, v2
	v_cvt_u32_f32_e32 v2, v2
	v_mul_lo_u32 v3, s1, v2
	v_mul_hi_u32 v3, v2, v3
	v_add_nc_u32_e32 v2, v2, v3
	v_mul_hi_u32 v2, v6, v2
	v_mul_lo_u32 v3, v2, s28
	v_add_nc_u32_e32 v8, 1, v2
	v_sub_nc_u32_e32 v3, v6, v3
	v_subrev_nc_u32_e32 v9, s28, v3
	v_cmp_le_u32_e32 vcc_lo, s28, v3
	v_cndmask_b32_e32 v3, v3, v9, vcc_lo
	v_cndmask_b32_e32 v2, v2, v8, vcc_lo
	v_cmp_le_u32_e32 vcc_lo, s28, v3
	v_add_nc_u32_e32 v8, 1, v2
	v_cndmask_b32_e32 v70, v2, v8, vcc_lo
.LBB0_6:                                ;   in Loop: Header=BB0_2 Depth=1
	s_or_b32 exec_lo, exec_lo, s0
	v_mul_lo_u32 v8, v71, s28
	v_mul_lo_u32 v9, v70, s29
	s_load_dwordx2 s[0:1], s[22:23], 0x0
	v_mad_u64_u32 v[2:3], null, v70, s28, 0
	s_load_dwordx2 s[28:29], s[6:7], 0x0
	s_add_u32 s26, s26, 1
	s_addc_u32 s27, s27, 0
	s_add_u32 s6, s6, 8
	s_addc_u32 s7, s7, 0
	s_add_u32 s22, s22, 8
	v_add3_u32 v3, v3, v9, v8
	v_sub_co_u32 v2, vcc_lo, v6, v2
	s_addc_u32 s23, s23, 0
	s_add_u32 s24, s24, 8
	v_sub_co_ci_u32_e32 v3, vcc_lo, v7, v3, vcc_lo
	s_addc_u32 s25, s25, 0
	s_waitcnt lgkmcnt(0)
	v_mul_lo_u32 v6, s0, v3
	v_mul_lo_u32 v7, s1, v2
	v_mad_u64_u32 v[4:5], null, s0, v2, v[4:5]
	v_mul_lo_u32 v3, s28, v3
	v_mul_lo_u32 v8, s29, v2
	v_mad_u64_u32 v[68:69], null, s28, v2, v[68:69]
	v_cmp_ge_u64_e64 s0, s[26:27], s[14:15]
	v_add3_u32 v5, v7, v5, v6
	v_add3_u32 v69, v8, v69, v3
	s_and_b32 vcc_lo, exec_lo, s0
	s_cbranch_vccnz .LBB0_8
; %bb.7:                                ;   in Loop: Header=BB0_2 Depth=1
	v_mov_b32_e32 v6, v70
	v_mov_b32_e32 v7, v71
	s_branch .LBB0_2
.LBB0_8:
	s_load_dwordx2 s[0:1], s[4:5], 0x28
	v_mul_hi_u32 v1, 0xf0f0f10, v0
	s_lshl_b64 s[4:5], s[14:15], 3
                                        ; implicit-def: $vgpr103
	s_add_u32 s56, s18, s4
	s_addc_u32 s57, s19, s5
	s_waitcnt lgkmcnt(0)
	v_cmp_gt_u64_e32 vcc_lo, s[0:1], v[70:71]
	v_cmp_le_u64_e64 s0, s[0:1], v[70:71]
                                        ; implicit-def: $sgpr1
	s_and_saveexec_b32 s6, s0
	s_xor_b32 s0, exec_lo, s6
; %bb.9:
	v_mul_u32_u24_e32 v1, 17, v1
	s_mov_b32 s1, 0
                                        ; implicit-def: $vgpr4_vgpr5
	v_sub_nc_u32_e32 v103, v0, v1
                                        ; implicit-def: $vgpr1
                                        ; implicit-def: $vgpr0
; %bb.10:
	s_or_saveexec_b32 s6, s0
	v_mov_b32_e32 v138, s1
                                        ; implicit-def: $vgpr2_vgpr3
                                        ; implicit-def: $vgpr10_vgpr11
                                        ; implicit-def: $vgpr26_vgpr27
                                        ; implicit-def: $vgpr30_vgpr31
                                        ; implicit-def: $vgpr34_vgpr35
                                        ; implicit-def: $vgpr38_vgpr39
                                        ; implicit-def: $vgpr42_vgpr43
                                        ; implicit-def: $vgpr46_vgpr47
                                        ; implicit-def: $vgpr50_vgpr51
                                        ; implicit-def: $vgpr54_vgpr55
                                        ; implicit-def: $vgpr66_vgpr67
                                        ; implicit-def: $vgpr62_vgpr63
                                        ; implicit-def: $vgpr58_vgpr59
                                        ; implicit-def: $vgpr22_vgpr23
                                        ; implicit-def: $vgpr18_vgpr19
                                        ; implicit-def: $vgpr14_vgpr15
                                        ; implicit-def: $vgpr6_vgpr7
	s_xor_b32 exec_lo, exec_lo, s6
	s_cbranch_execz .LBB0_12
; %bb.11:
	s_add_u32 s0, s16, s4
	s_addc_u32 s1, s17, s5
	v_mul_u32_u24_e32 v1, 17, v1
	s_load_dwordx2 s[0:1], s[0:1], 0x0
	v_sub_nc_u32_e32 v103, v0, v1
	v_lshlrev_b64 v[0:1], 4, v[4:5]
	v_add_nc_u32_e32 v14, 17, v103
	v_add_nc_u32_e32 v15, 34, v103
	v_mad_u64_u32 v[2:3], null, s20, v103, 0
	v_add_nc_u32_e32 v16, 51, v103
	v_mad_u64_u32 v[4:5], null, s20, v14, 0
	v_mad_u64_u32 v[6:7], null, s20, v15, 0
	;; [unrolled: 1-line block ×3, first 2 shown]
	s_waitcnt lgkmcnt(0)
	v_mul_lo_u32 v18, s1, v70
	v_mul_lo_u32 v19, s0, v71
	v_mad_u64_u32 v[8:9], null, s0, v70, 0
	v_mad_u64_u32 v[12:13], null, s21, v103, v[3:4]
	v_mov_b32_e32 v3, v5
	v_mov_b32_e32 v5, v7
	;; [unrolled: 1-line block ×3, first 2 shown]
	v_add_nc_u32_e32 v17, 0x44, v103
	v_add3_u32 v9, v9, v19, v18
	v_mad_u64_u32 v[13:14], null, s21, v14, v[3:4]
	v_mov_b32_e32 v3, v12
	v_mad_u64_u32 v[11:12], null, s21, v15, v[5:6]
	v_lshlrev_b64 v[8:9], 4, v[8:9]
	v_mad_u64_u32 v[24:25], null, s20, v17, 0
	v_mov_b32_e32 v5, v13
	v_lshlrev_b64 v[2:3], 4, v[2:3]
	v_add_nc_u32_e32 v12, 0x55, v103
	v_mad_u64_u32 v[14:15], null, s21, v16, v[7:8]
	v_add_co_u32 v7, s0, s8, v8
	v_add_co_ci_u32_e64 v8, s0, s9, v9, s0
	v_add_nc_u32_e32 v26, 0x66, v103
	v_add_co_u32 v43, s0, v7, v0
	v_mov_b32_e32 v7, v11
	v_add_co_ci_u32_e64 v74, s0, v8, v1, s0
	v_lshlrev_b64 v[0:1], 4, v[4:5]
	v_mov_b32_e32 v11, v14
	v_lshlrev_b64 v[5:6], 4, v[6:7]
	v_mov_b32_e32 v4, v25
	v_add_co_u32 v2, s0, v43, v2
	v_lshlrev_b64 v[7:8], 4, v[10:11]
	v_add_co_ci_u32_e64 v3, s0, v74, v3, s0
	v_mad_u64_u32 v[9:10], null, s21, v17, v[4:5]
	v_mad_u64_u32 v[10:11], null, s20, v12, 0
	v_add_co_u32 v0, s0, v43, v0
	v_add_co_ci_u32_e64 v1, s0, v74, v1, s0
	v_add_co_u32 v16, s0, v43, v5
	v_mov_b32_e32 v4, v11
	v_add_co_ci_u32_e64 v17, s0, v74, v6, s0
	v_add_co_u32 v20, s0, v43, v7
	v_add_co_ci_u32_e64 v21, s0, v74, v8, s0
	v_mad_u64_u32 v[11:12], null, s21, v12, v[4:5]
	s_clause 0x3
	global_load_dwordx4 v[4:7], v[2:3], off
	global_load_dwordx4 v[12:15], v[0:1], off
	;; [unrolled: 1-line block ×4, first 2 shown]
	v_mov_b32_e32 v25, v9
	v_mad_u64_u32 v[8:9], null, s20, v26, 0
	v_add_nc_u32_e32 v28, 0x77, v103
	v_add_nc_u32_e32 v29, 0x88, v103
	v_lshlrev_b64 v[0:1], 4, v[24:25]
	v_add_nc_u32_e32 v32, 0x99, v103
	v_add_nc_u32_e32 v34, 0xaa, v103
	v_mad_u64_u32 v[24:25], null, s20, v28, 0
	v_mov_b32_e32 v2, v9
	v_add_nc_u32_e32 v36, 0xbb, v103
	v_mad_u64_u32 v[30:31], null, s20, v34, 0
	v_add_nc_u32_e32 v38, 0xcc, v103
	v_mad_u64_u32 v[2:3], null, s21, v26, v[2:3]
	v_mov_b32_e32 v3, v25
	v_mad_u64_u32 v[26:27], null, s20, v29, 0
	v_lshlrev_b64 v[10:11], 4, v[10:11]
	v_add_co_u32 v0, s0, v43, v0
	v_mov_b32_e32 v9, v2
	v_add_co_ci_u32_e64 v1, s0, v74, v1, s0
	v_add_co_u32 v10, s0, v43, v10
	v_lshlrev_b64 v[8:9], 4, v[8:9]
	v_add_co_ci_u32_e64 v11, s0, v74, v11, s0
	v_add_nc_u32_e32 v40, 0xdd, v103
	v_add_nc_u32_e32 v41, 0xee, v103
	;; [unrolled: 1-line block ×3, first 2 shown]
	v_add_co_u32 v8, s0, v43, v8
	v_add_co_ci_u32_e64 v9, s0, v74, v9, s0
	v_add_nc_u32_e32 v45, 0x110, v103
	s_clause 0x1
	global_load_dwordx4 v[56:59], v[0:1], off
	global_load_dwordx4 v[60:63], v[10:11], off
	v_mov_b32_e32 v138, v103
	s_waitcnt vmcnt(5)
	v_mad_u64_u32 v[2:3], null, s21, v28, v[3:4]
	v_mov_b32_e32 v3, v27
	v_mov_b32_e32 v25, v2
	v_mad_u64_u32 v[2:3], null, s21, v29, v[3:4]
	v_mad_u64_u32 v[28:29], null, s20, v32, 0
	v_lshlrev_b64 v[24:25], 4, v[24:25]
	v_mov_b32_e32 v27, v2
	v_mov_b32_e32 v2, v29
	v_add_co_u32 v24, s0, v43, v24
	v_lshlrev_b64 v[26:27], 4, v[26:27]
	v_add_co_ci_u32_e64 v25, s0, v74, v25, s0
	v_mad_u64_u32 v[2:3], null, s21, v32, v[2:3]
	v_mad_u64_u32 v[32:33], null, s20, v36, 0
	v_mov_b32_e32 v3, v31
	v_add_co_u32 v26, s0, v43, v26
	v_add_co_ci_u32_e64 v27, s0, v74, v27, s0
	v_mov_b32_e32 v29, v2
	v_mad_u64_u32 v[2:3], null, s21, v34, v[3:4]
	v_mov_b32_e32 v3, v33
	v_mad_u64_u32 v[34:35], null, s20, v38, 0
	v_lshlrev_b64 v[28:29], 4, v[28:29]
	s_clause 0x1
	global_load_dwordx4 v[64:67], v[8:9], off
	global_load_dwordx4 v[52:55], v[24:25], off
	v_mad_u64_u32 v[36:37], null, s21, v36, v[3:4]
	v_mov_b32_e32 v31, v2
	v_mov_b32_e32 v2, v35
	v_add_co_u32 v28, s0, v43, v28
	v_lshlrev_b64 v[30:31], 4, v[30:31]
	v_mov_b32_e32 v33, v36
	v_mad_u64_u32 v[2:3], null, s21, v38, v[2:3]
	v_mad_u64_u32 v[36:37], null, s20, v40, 0
	v_lshlrev_b64 v[32:33], 4, v[32:33]
	v_add_co_ci_u32_e64 v29, s0, v74, v29, s0
	v_mad_u64_u32 v[38:39], null, s20, v41, 0
	v_add_co_u32 v30, s0, v43, v30
	v_mov_b32_e32 v35, v2
	v_add_co_ci_u32_e64 v31, s0, v74, v31, s0
	v_add_co_u32 v2, s0, v43, v32
	v_add_co_ci_u32_e64 v3, s0, v74, v33, s0
	v_lshlrev_b64 v[33:34], 4, v[34:35]
	v_mov_b32_e32 v32, v37
	v_mov_b32_e32 v35, v39
	v_mad_u64_u32 v[39:40], null, s21, v40, v[32:33]
	v_mad_u64_u32 v[40:41], null, s21, v41, v[35:36]
	v_add_co_u32 v32, s0, v43, v33
	v_mad_u64_u32 v[41:42], null, s20, v44, 0
	v_add_co_ci_u32_e64 v33, s0, v74, v34, s0
	v_mad_u64_u32 v[34:35], null, s20, v45, 0
	v_mov_b32_e32 v37, v39
	v_mov_b32_e32 v39, v40
	v_mad_u64_u32 v[0:1], null, s21, v44, v[42:43]
	v_lshlrev_b64 v[8:9], 4, v[36:37]
	v_mov_b32_e32 v1, v35
	v_lshlrev_b64 v[24:25], 4, v[38:39]
	v_mov_b32_e32 v42, v0
	v_mad_u64_u32 v[10:11], null, s21, v45, v[1:2]
	v_add_co_u32 v0, s0, v43, v8
	v_add_co_ci_u32_e64 v1, s0, v74, v9, s0
	v_lshlrev_b64 v[8:9], 4, v[41:42]
	s_clause 0x1
	global_load_dwordx4 v[48:51], v[26:27], off
	global_load_dwordx4 v[44:47], v[28:29], off
	v_mov_b32_e32 v35, v10
	v_add_co_u32 v10, s0, v43, v24
	v_add_co_ci_u32_e64 v11, s0, v74, v25, s0
	v_lshlrev_b64 v[24:25], 4, v[34:35]
	v_add_co_u32 v8, s0, v43, v8
	v_add_co_ci_u32_e64 v9, s0, v74, v9, s0
	v_add_co_u32 v73, s0, v43, v24
	v_add_co_ci_u32_e64 v74, s0, v74, v25, s0
	s_clause 0x6
	global_load_dwordx4 v[40:43], v[30:31], off
	global_load_dwordx4 v[36:39], v[2:3], off
	;; [unrolled: 1-line block ×7, first 2 shown]
.LBB0_12:
	s_or_b32 exec_lo, exec_lo, s6
	s_waitcnt vmcnt(15)
	v_add_f64 v[73:74], v[12:13], v[4:5]
	v_add_f64 v[75:76], v[14:15], v[6:7]
	s_waitcnt vmcnt(6)
	v_add_f64 v[81:82], v[42:43], v[54:55]
	v_add_f64 v[83:84], v[54:55], -v[42:43]
	v_add_f64 v[79:80], v[44:45], v[48:49]
	v_add_f64 v[77:78], v[48:49], -v[44:45]
	v_add_f64 v[87:88], v[40:41], v[52:53]
	v_add_f64 v[85:86], v[52:53], -v[40:41]
	s_waitcnt vmcnt(5)
	v_add_f64 v[93:94], v[36:37], v[64:65]
	v_add_f64 v[89:90], v[38:39], v[66:67]
	v_add_f64 v[91:92], v[64:65], -v[36:37]
	s_waitcnt vmcnt(4)
	v_add_f64 v[97:98], v[32:33], v[60:61]
	v_add_f64 v[95:96], v[60:61], -v[32:33]
	s_waitcnt vmcnt(0)
	v_add_f64 v[110:111], v[0:1], v[12:13]
	v_add_f64 v[12:13], v[12:13], -v[0:1]
	s_mov_b32 s0, 0x370991
	s_mov_b32 s4, 0x5d8e7cdc
	;; [unrolled: 1-line block ×7, first 2 shown]
	v_add_f64 v[73:74], v[16:17], v[73:74]
	v_add_f64 v[75:76], v[18:19], v[75:76]
	s_mov_b32 s48, 0xeb564b22
	s_mov_b32 s26, 0xc61f0d01
	;; [unrolled: 1-line block ×20, first 2 shown]
	v_add_f64 v[73:74], v[20:21], v[73:74]
	v_add_f64 v[75:76], v[22:23], v[75:76]
	s_mov_b32 s41, 0xbfefdd0d
	s_mov_b32 s27, 0xbfd183b1
	;; [unrolled: 1-line block ×20, first 2 shown]
	v_add_f64 v[73:74], v[56:57], v[73:74]
	v_add_f64 v[75:76], v[58:59], v[75:76]
	s_mov_b32 s44, s52
	v_add_f64 v[101:102], v[28:29], v[56:57]
	v_add_f64 v[99:100], v[56:57], -v[28:29]
	v_add_f64 v[56:57], v[58:59], -v[30:31]
	v_add_f64 v[108:109], v[10:11], v[18:19]
	v_add_f64 v[18:19], v[18:19], -v[10:11]
	v_add_f64 v[112:113], v[2:3], v[14:15]
	v_add_f64 v[14:15], v[14:15], -v[2:3]
	v_mul_f64 v[114:115], v[110:111], s[8:9]
	v_mul_f64 v[116:117], v[12:13], s[6:7]
	v_mul_f64 v[118:119], v[12:13], s[50:51]
	v_mul_f64 v[120:121], v[12:13], s[24:25]
	v_mul_f64 v[122:123], v[12:13], s[40:41]
	v_mul_f64 v[124:125], v[12:13], s[30:31]
	v_mul_f64 v[126:127], v[12:13], s[22:23]
	v_mul_f64 v[128:129], v[12:13], s[14:15]
	v_mul_f64 v[130:131], v[12:13], s[44:45]
	s_load_dwordx2 s[56:57], s[56:57], 0x0
	v_add_f64 v[73:74], v[60:61], v[73:74]
	v_add_f64 v[75:76], v[62:63], v[75:76]
	v_add_f64 v[60:61], v[62:63], -v[34:35]
	v_fma_f64 v[163:164], v[14:15], s[28:29], v[114:115]
	v_fma_f64 v[114:115], v[14:15], s[14:15], v[114:115]
	;; [unrolled: 1-line block ×3, first 2 shown]
	v_fma_f64 v[118:119], v[112:113], s[46:47], -v[118:119]
	v_fma_f64 v[169:170], v[112:113], s[18:19], v[120:121]
	v_fma_f64 v[120:121], v[112:113], s[18:19], -v[120:121]
	v_fma_f64 v[171:172], v[112:113], s[38:39], v[122:123]
	;; [unrolled: 2-line block ×4, first 2 shown]
	v_add_f64 v[104:105], v[64:65], v[73:74]
	v_add_f64 v[106:107], v[66:67], v[75:76]
	;; [unrolled: 1-line block ×3, first 2 shown]
	v_add_f64 v[75:76], v[50:51], -v[46:47]
	v_add_f64 v[64:65], v[66:67], -v[38:39]
	v_add_f64 v[66:67], v[34:35], v[62:63]
	v_add_f64 v[62:63], v[30:31], v[58:59]
	;; [unrolled: 1-line block ×3, first 2 shown]
	v_add_f64 v[20:21], v[20:21], -v[24:25]
	v_add_f64 v[163:164], v[4:5], v[163:164]
	v_add_f64 v[114:115], v[4:5], v[114:115]
	;; [unrolled: 1-line block ×14, first 2 shown]
	v_add_f64 v[16:17], v[16:17], -v[8:9]
	v_add_f64 v[52:53], v[26:27], v[22:23]
	v_add_f64 v[22:23], v[22:23], -v[26:27]
	v_mul_f64 v[195:196], v[58:59], s[16:17]
	v_mul_f64 v[197:198], v[58:59], s[42:43]
	;; [unrolled: 1-line block ×6, first 2 shown]
	v_add_f64 v[48:49], v[48:49], v[104:105]
	v_add_f64 v[50:51], v[50:51], v[54:55]
	v_mul_f64 v[54:55], v[110:111], s[26:27]
	v_mul_f64 v[104:105], v[110:111], s[16:17]
	;; [unrolled: 1-line block ×12, first 2 shown]
	v_fma_f64 v[209:210], v[22:23], s[34:35], v[195:196]
	v_fma_f64 v[195:196], v[22:23], s[22:23], v[195:196]
	;; [unrolled: 1-line block ×8, first 2 shown]
	v_add_f64 v[44:45], v[44:45], v[48:49]
	v_add_f64 v[46:47], v[46:47], v[50:51]
	v_mul_hi_u32 v48, 0x24924925, v72
	v_mul_f64 v[50:51], v[110:111], s[38:39]
	v_fma_f64 v[159:160], v[14:15], s[36:37], v[54:55]
	v_fma_f64 v[54:55], v[14:15], s[30:31], v[54:55]
	;; [unrolled: 1-line block ×6, first 2 shown]
	v_sub_nc_u32_e32 v49, v72, v48
	v_fma_f64 v[185:186], v[18:19], s[30:31], v[139:140]
	v_fma_f64 v[139:140], v[18:19], s[36:37], v[139:140]
	;; [unrolled: 1-line block ×3, first 2 shown]
	v_fma_f64 v[151:152], v[108:109], s[8:9], -v[151:152]
	v_lshrrev_b32_e32 v49, 1, v49
	v_fma_f64 v[189:190], v[108:109], s[26:27], v[153:154]
	v_fma_f64 v[153:154], v[108:109], s[26:27], -v[153:154]
	v_fma_f64 v[217:218], v[22:23], s[4:5], v[203:204]
	v_fma_f64 v[203:204], v[22:23], s[6:7], v[203:204]
	v_add_nc_u32_e32 v134, v49, v48
	v_mul_f64 v[48:49], v[110:111], s[18:19]
	v_add_f64 v[40:41], v[40:41], v[44:45]
	v_add_f64 v[42:43], v[42:43], v[46:47]
	v_mul_f64 v[44:45], v[110:111], s[0:1]
	v_mul_f64 v[46:47], v[110:111], s[46:47]
	;; [unrolled: 1-line block ×3, first 2 shown]
	v_lshrrev_b32_e32 v12, 2, v134
	v_mul_f64 v[134:135], v[106:107], s[42:43]
	v_add_f64 v[159:160], v[4:5], v[159:160]
	v_add_f64 v[54:55], v[4:5], v[54:55]
	;; [unrolled: 1-line block ×4, first 2 shown]
	v_fma_f64 v[219:220], v[22:23], s[48:49], v[205:206]
	v_fma_f64 v[205:206], v[22:23], s[40:41], v[205:206]
	v_mul_lo_u32 v12, v12, 7
	v_sub_nc_u32_e32 v12, v72, v12
	v_add_f64 v[36:37], v[36:37], v[40:41]
	v_add_f64 v[38:39], v[38:39], v[42:43]
	v_mul_f64 v[40:41], v[106:107], s[38:39]
	v_mul_f64 v[42:43], v[106:107], s[16:17]
	;; [unrolled: 1-line block ×3, first 2 shown]
	v_fma_f64 v[155:156], v[14:15], s[4:5], v[44:45]
	v_fma_f64 v[44:45], v[14:15], s[6:7], v[44:45]
	;; [unrolled: 1-line block ×7, first 2 shown]
	v_add_f64 v[54:55], v[136:137], v[54:55]
	v_mul_f64 v[136:137], v[20:21], s[36:37]
	v_add_f64 v[104:105], v[139:140], v[104:105]
	v_mul_u32_u24_e32 v12, 0x121, v12
	v_lshlrev_b32_e32 v12, 3, v12
	v_add_f64 v[32:33], v[32:33], v[36:37]
	v_add_f64 v[34:35], v[34:35], v[38:39]
	v_fma_f64 v[36:37], v[14:15], s[20:21], v[48:49]
	v_fma_f64 v[38:39], v[14:15], s[24:25], v[48:49]
	;; [unrolled: 1-line block ×6, first 2 shown]
	v_fma_f64 v[116:117], v[112:113], s[0:1], -v[116:117]
	v_fma_f64 v[177:178], v[18:19], s[48:49], v[40:41]
	v_fma_f64 v[40:41], v[18:19], s[40:41], v[40:41]
	;; [unrolled: 1-line block ×4, first 2 shown]
	v_add_f64 v[155:156], v[4:5], v[155:156]
	v_add_f64 v[44:45], v[4:5], v[44:45]
	;; [unrolled: 1-line block ×9, first 2 shown]
	v_fma_f64 v[32:33], v[112:113], s[26:27], v[124:125]
	v_fma_f64 v[34:35], v[112:113], s[26:27], -v[124:125]
	v_fma_f64 v[124:125], v[112:113], s[16:17], v[126:127]
	v_fma_f64 v[126:127], v[112:113], s[16:17], -v[126:127]
	v_fma_f64 v[112:113], v[112:113], s[42:43], -v[130:131]
	v_fma_f64 v[130:131], v[18:19], s[54:55], v[132:133]
	v_fma_f64 v[132:133], v[18:19], s[50:51], v[132:133]
	v_add_f64 v[110:111], v[6:7], v[110:111]
	v_add_f64 v[116:117], v[6:7], v[116:117]
	;; [unrolled: 1-line block ×7, first 2 shown]
	v_fma_f64 v[13:14], v[108:109], s[46:47], v[143:144]
	v_add_f64 v[40:41], v[40:41], v[46:47]
	v_add_f64 v[24:25], v[24:25], v[28:29]
	;; [unrolled: 1-line block ×3, first 2 shown]
	v_fma_f64 v[28:29], v[18:19], s[24:25], v[141:142]
	v_fma_f64 v[30:31], v[18:19], s[20:21], v[141:142]
	;; [unrolled: 1-line block ×4, first 2 shown]
	v_mul_f64 v[106:107], v[16:17], s[20:21]
	v_mul_f64 v[15:16], v[16:17], s[4:5]
	v_add_f64 v[32:33], v[6:7], v[32:33]
	v_add_f64 v[34:35], v[6:7], v[34:35]
	;; [unrolled: 1-line block ×5, first 2 shown]
	v_fma_f64 v[112:113], v[108:109], s[46:47], -v[143:144]
	v_fma_f64 v[143:144], v[108:109], s[38:39], v[145:146]
	v_fma_f64 v[145:146], v[108:109], s[38:39], -v[145:146]
	v_add_f64 v[13:14], v[13:14], v[110:111]
	v_add_f64 v[44:45], v[132:133], v[44:45]
	;; [unrolled: 1-line block ×8, first 2 shown]
	v_fma_f64 v[24:25], v[108:109], s[16:17], v[147:148]
	v_fma_f64 v[26:27], v[108:109], s[16:17], -v[147:148]
	v_fma_f64 v[147:148], v[108:109], s[42:43], v[149:150]
	v_fma_f64 v[149:150], v[108:109], s[42:43], -v[149:150]
	;; [unrolled: 2-line block ×4, first 2 shown]
	v_mul_f64 v[108:109], v[58:59], s[18:19]
	v_mul_f64 v[58:59], v[58:59], s[8:9]
	v_add_f64 v[132:133], v[151:152], v[34:35]
	v_add_f64 v[110:111], v[112:113], v[116:117]
	;; [unrolled: 1-line block ×5, first 2 shown]
	v_mul_f64 v[34:35], v[20:21], s[52:53]
	v_mul_f64 v[143:144], v[20:21], s[54:55]
	;; [unrolled: 1-line block ×3, first 2 shown]
	v_add_f64 v[30:31], v[30:31], v[114:115]
	v_mul_f64 v[114:115], v[20:21], s[40:41]
	v_add_f64 v[124:125], v[189:190], v[124:125]
	v_add_f64 v[126:127], v[153:154], v[126:127]
	v_add_f64 v[4:5], v[18:19], v[4:5]
	v_add_f64 v[0:1], v[0:1], v[8:9]
	v_add_f64 v[48:49], v[147:148], v[171:172]
	v_add_f64 v[118:119], v[149:150], v[122:123]
	v_mul_f64 v[122:123], v[20:21], s[24:25]
	v_add_f64 v[106:107], v[106:107], v[128:129]
	v_fma_f64 v[128:129], v[52:53], s[26:27], v[136:137]
	v_fma_f64 v[136:137], v[52:53], s[26:27], -v[136:137]
	v_fma_f64 v[207:208], v[22:23], s[20:21], v[108:109]
	v_fma_f64 v[108:109], v[22:23], s[24:25], v[108:109]
	;; [unrolled: 1-line block ×4, first 2 shown]
	v_add_f64 v[58:59], v[130:131], v[155:156]
	v_mul_f64 v[130:131], v[20:21], s[22:23]
	v_mul_f64 v[20:21], v[20:21], s[14:15]
	v_fma_f64 v[151:152], v[52:53], s[42:43], v[34:35]
	v_fma_f64 v[153:154], v[52:53], s[42:43], -v[34:35]
	v_fma_f64 v[155:156], v[52:53], s[46:47], v[143:144]
	v_fma_f64 v[143:144], v[52:53], s[46:47], -v[143:144]
	v_add_f64 v[6:7], v[15:16], v[6:7]
	v_add_f64 v[34:35], v[2:3], v[10:11]
	v_fma_f64 v[2:3], v[52:53], s[0:1], v[145:146]
	v_fma_f64 v[8:9], v[52:53], s[0:1], -v[145:146]
	v_mul_f64 v[10:11], v[101:102], s[38:39]
	v_add_f64 v[24:25], v[24:25], v[169:170]
	v_add_f64 v[36:37], v[211:212], v[36:37]
	v_fma_f64 v[139:140], v[52:53], s[18:19], v[122:123]
	v_fma_f64 v[122:123], v[52:53], s[18:19], -v[122:123]
	v_add_f64 v[48:49], v[128:129], v[48:49]
	v_mul_f64 v[128:129], v[101:102], s[26:27]
	v_add_f64 v[118:119], v[136:137], v[118:119]
	v_add_f64 v[17:18], v[108:109], v[44:45]
	;; [unrolled: 1-line block ×5, first 2 shown]
	v_fma_f64 v[147:148], v[52:53], s[16:17], v[130:131]
	v_fma_f64 v[130:131], v[52:53], s[16:17], -v[130:131]
	v_add_f64 v[58:59], v[209:210], v[112:113]
	v_fma_f64 v[112:113], v[52:53], s[38:39], v[114:115]
	v_fma_f64 v[114:115], v[52:53], s[38:39], -v[114:115]
	v_add_f64 v[120:121], v[183:184], v[159:160]
	v_add_f64 v[32:33], v[187:188], v[32:33]
	;; [unrolled: 1-line block ×5, first 2 shown]
	v_fma_f64 v[124:125], v[56:57], s[48:49], v[10:11]
	v_fma_f64 v[10:11], v[56:57], s[40:41], v[10:11]
	v_add_f64 v[149:150], v[191:192], v[173:174]
	v_add_f64 v[13:14], v[139:140], v[13:14]
	;; [unrolled: 1-line block ×3, first 2 shown]
	v_mul_f64 v[110:111], v[99:100], s[40:41]
	v_mul_f64 v[122:123], v[99:100], s[44:45]
	v_add_f64 v[157:158], v[193:194], v[175:176]
	v_add_f64 v[24:25], v[151:152], v[24:25]
	;; [unrolled: 1-line block ×6, first 2 shown]
	v_fma_f64 v[116:117], v[52:53], s[8:9], v[20:21]
	v_fma_f64 v[19:20], v[52:53], s[8:9], -v[20:21]
	v_mul_f64 v[52:53], v[101:102], s[42:43]
	v_add_f64 v[46:47], v[130:131], v[46:47]
	v_mul_f64 v[130:131], v[99:100], s[36:37]
	v_add_f64 v[106:107], v[114:115], v[106:107]
	;; [unrolled: 2-line block ×3, first 2 shown]
	v_add_f64 v[42:43], v[213:214], v[42:43]
	v_add_f64 v[15:16], v[124:125], v[15:16]
	v_mul_f64 v[124:125], v[101:102], s[8:9]
	v_add_f64 v[10:11], v[10:11], v[17:18]
	v_add_f64 v[50:51], v[199:200], v[50:51]
	;; [unrolled: 1-line block ×3, first 2 shown]
	v_fma_f64 v[136:137], v[62:63], s[38:39], v[110:111]
	v_fma_f64 v[110:111], v[62:63], s[38:39], -v[110:111]
	v_fma_f64 v[139:140], v[62:63], s[42:43], v[122:123]
	v_fma_f64 v[114:115], v[62:63], s[42:43], -v[122:123]
	v_fma_f64 v[122:123], v[56:57], s[30:31], v[128:129]
	v_add_f64 v[32:33], v[155:156], v[32:33]
	v_add_f64 v[28:29], v[219:220], v[28:29]
	v_add_f64 v[112:113], v[112:113], v[149:150]
	v_add_f64 v[30:31], v[205:206], v[30:31]
	v_add_f64 v[6:7], v[19:20], v[6:7]
	v_fma_f64 v[126:127], v[56:57], s[52:53], v[52:53]
	v_fma_f64 v[52:53], v[56:57], s[44:45], v[52:53]
	;; [unrolled: 1-line block ×3, first 2 shown]
	v_mul_f64 v[19:20], v[101:102], s[18:19]
	v_add_f64 v[116:117], v[116:117], v[157:158]
	v_fma_f64 v[130:131], v[62:63], s[26:27], -v[130:131]
	v_mul_f64 v[151:152], v[97:98], s[26:27]
	v_mul_f64 v[153:154], v[95:96], s[30:31]
	v_add_f64 v[134:135], v[185:186], v[161:162]
	v_add_f64 v[141:142], v[141:142], v[165:166]
	;; [unrolled: 1-line block ×3, first 2 shown]
	v_mul_f64 v[136:137], v[99:100], s[4:5]
	v_add_f64 v[17:18], v[110:111], v[44:45]
	v_mul_f64 v[44:45], v[101:102], s[16:17]
	v_mul_f64 v[101:102], v[101:102], s[46:47]
	;; [unrolled: 1-line block ×3, first 2 shown]
	v_add_f64 v[46:47], v[114:115], v[46:47]
	v_add_f64 v[36:37], v[122:123], v[36:37]
	v_mul_f64 v[114:115], v[99:100], s[34:35]
	v_fma_f64 v[122:123], v[56:57], s[36:37], v[128:129]
	v_add_f64 v[58:59], v[126:127], v[58:59]
	v_add_f64 v[40:41], v[52:53], v[40:41]
	v_mul_f64 v[52:53], v[99:100], s[14:15]
	v_mul_f64 v[99:100], v[99:100], s[54:55]
	v_add_f64 v[108:109], v[139:140], v[108:109]
	v_add_f64 v[23:24], v[143:144], v[24:25]
	v_fma_f64 v[126:127], v[56:57], s[6:7], v[21:22]
	v_fma_f64 v[21:22], v[56:57], s[4:5], v[21:22]
	;; [unrolled: 1-line block ×6, first 2 shown]
	v_add_f64 v[25:26], v[130:131], v[26:27]
	v_fma_f64 v[143:144], v[62:63], s[0:1], v[136:137]
	v_fma_f64 v[136:137], v[62:63], s[0:1], -v[136:137]
	v_fma_f64 v[145:146], v[56:57], s[22:23], v[44:45]
	v_fma_f64 v[44:45], v[56:57], s[34:35], v[44:45]
	v_fma_f64 v[147:148], v[56:57], s[50:51], v[101:102]
	v_fma_f64 v[149:150], v[62:63], s[18:19], v[110:111]
	v_fma_f64 v[56:57], v[56:57], s[54:55], v[101:102]
	v_fma_f64 v[101:102], v[62:63], s[18:19], -v[110:111]
	v_fma_f64 v[155:156], v[62:63], s[16:17], v[114:115]
	v_fma_f64 v[114:115], v[62:63], s[16:17], -v[114:115]
	v_add_f64 v[38:39], v[122:123], v[38:39]
	v_fma_f64 v[110:111], v[62:63], s[8:9], v[52:53]
	v_fma_f64 v[52:53], v[62:63], s[8:9], -v[52:53]
	v_fma_f64 v[157:158], v[62:63], s[46:47], v[99:100]
	v_fma_f64 v[62:63], v[62:63], s[46:47], -v[99:100]
	v_mul_f64 v[99:100], v[97:98], s[8:9]
	v_mul_f64 v[122:123], v[95:96], s[28:29]
	v_add_f64 v[42:43], v[126:127], v[42:43]
	v_add_f64 v[21:22], v[21:22], v[50:51]
	v_mul_f64 v[126:127], v[95:96], s[54:55]
	v_add_f64 v[120:121], v[128:129], v[120:121]
	v_fma_f64 v[128:129], v[66:67], s[26:27], v[153:154]
	v_add_f64 v[104:105], v[124:125], v[104:105]
	v_add_f64 v[50:51], v[136:137], v[118:119]
	v_mul_f64 v[118:119], v[97:98], s[46:47]
	v_fma_f64 v[124:125], v[66:67], s[26:27], -v[153:154]
	v_add_f64 v[27:28], v[145:146], v[28:29]
	v_add_f64 v[29:30], v[44:45], v[30:31]
	;; [unrolled: 1-line block ×8, first 2 shown]
	v_fma_f64 v[110:111], v[60:61], s[36:37], v[151:152]
	v_add_f64 v[8:9], v[52:53], v[8:9]
	v_fma_f64 v[52:53], v[60:61], s[30:31], v[151:152]
	v_fma_f64 v[130:131], v[60:61], s[14:15], v[99:100]
	;; [unrolled: 1-line block ×4, first 2 shown]
	v_fma_f64 v[114:115], v[66:67], s[8:9], -v[122:123]
	v_fma_f64 v[132:133], v[66:67], s[46:47], v[126:127]
	v_add_f64 v[4:5], v[56:57], v[4:5]
	v_mul_f64 v[56:57], v[97:98], s[18:19]
	v_add_f64 v[6:7], v[62:63], v[6:7]
	v_mul_f64 v[62:63], v[97:98], s[42:43]
	v_fma_f64 v[122:123], v[60:61], s[50:51], v[118:119]
	v_add_f64 v[13:14], v[128:129], v[13:14]
	v_mul_f64 v[128:129], v[95:96], s[24:25]
	v_add_f64 v[17:18], v[124:125], v[17:18]
	v_mul_f64 v[124:125], v[95:96], s[44:45]
	v_add_f64 v[48:49], v[143:144], v[48:49]
	v_add_f64 v[32:33], v[149:150], v[32:33]
	;; [unrolled: 1-line block ×4, first 2 shown]
	v_fma_f64 v[126:127], v[66:67], s[46:47], -v[126:127]
	v_add_f64 v[15:16], v[110:111], v[15:16]
	v_mul_f64 v[110:111], v[97:98], s[38:39]
	v_add_f64 v[10:11], v[52:53], v[10:11]
	v_mul_f64 v[52:53], v[97:98], s[0:1]
	v_mul_f64 v[97:98], v[97:98], s[16:17]
	v_add_f64 v[44:45], v[44:45], v[108:109]
	v_add_f64 v[40:41], v[99:100], v[40:41]
	v_mul_f64 v[99:100], v[95:96], s[48:49]
	v_add_f64 v[46:47], v[114:115], v[46:47]
	v_mul_f64 v[108:109], v[95:96], s[6:7]
	v_fma_f64 v[114:115], v[60:61], s[54:55], v[118:119]
	v_mul_f64 v[95:96], v[95:96], s[22:23]
	v_add_f64 v[58:59], v[130:131], v[58:59]
	v_add_f64 v[36:37], v[122:123], v[36:37]
	;; [unrolled: 1-line block ×3, first 2 shown]
	v_fma_f64 v[118:119], v[60:61], s[20:21], v[56:57]
	v_fma_f64 v[56:57], v[60:61], s[24:25], v[56:57]
	;; [unrolled: 1-line block ×5, first 2 shown]
	v_fma_f64 v[128:129], v[66:67], s[18:19], -v[128:129]
	v_fma_f64 v[141:142], v[66:67], s[42:43], v[124:125]
	v_mul_f64 v[143:144], v[93:94], s[16:17]
	v_fma_f64 v[130:131], v[60:61], s[40:41], v[110:111]
	v_fma_f64 v[110:111], v[60:61], s[48:49], v[110:111]
	;; [unrolled: 1-line block ×6, first 2 shown]
	v_fma_f64 v[97:98], v[66:67], s[42:43], -v[124:125]
	v_fma_f64 v[124:125], v[66:67], s[38:39], v[99:100]
	v_fma_f64 v[99:100], v[66:67], s[38:39], -v[99:100]
	v_mul_f64 v[145:146], v[91:92], s[22:23]
	v_fma_f64 v[147:148], v[66:67], s[0:1], v[108:109]
	v_fma_f64 v[108:109], v[66:67], s[0:1], -v[108:109]
	v_fma_f64 v[149:150], v[66:67], s[16:17], v[95:96]
	v_fma_f64 v[66:67], v[66:67], s[16:17], -v[95:96]
	v_add_f64 v[38:39], v[114:115], v[38:39]
	v_mul_f64 v[95:96], v[93:94], s[26:27]
	v_mul_f64 v[114:115], v[91:92], s[36:37]
	v_add_f64 v[21:22], v[56:57], v[21:22]
	v_mul_f64 v[56:57], v[93:94], s[0:1]
	v_add_f64 v[120:121], v[122:123], v[120:121]
	v_add_f64 v[42:43], v[118:119], v[42:43]
	v_mul_f64 v[118:119], v[91:92], s[6:7]
	v_add_f64 v[19:20], v[62:63], v[19:20]
	v_add_f64 v[104:105], v[110:111], v[104:105]
	;; [unrolled: 1-line block ×7, first 2 shown]
	v_fma_f64 v[97:98], v[64:65], s[34:35], v[143:144]
	v_add_f64 v[8:9], v[99:100], v[8:9]
	v_fma_f64 v[99:100], v[64:65], s[22:23], v[143:144]
	v_fma_f64 v[110:111], v[89:90], s[16:17], -v[145:146]
	v_fma_f64 v[101:102], v[89:90], s[16:17], v[145:146]
	v_add_f64 v[106:107], v[108:109], v[106:107]
	v_mul_f64 v[60:61], v[93:94], s[8:9]
	v_add_f64 v[6:7], v[66:67], v[6:7]
	v_fma_f64 v[122:123], v[64:65], s[30:31], v[95:96]
	v_fma_f64 v[52:53], v[89:90], s[26:27], v[114:115]
	;; [unrolled: 1-line block ×3, first 2 shown]
	v_fma_f64 v[108:109], v[89:90], s[26:27], -v[114:115]
	v_fma_f64 v[114:115], v[64:65], s[4:5], v[56:57]
	v_mul_f64 v[66:67], v[93:94], s[38:39]
	v_fma_f64 v[56:57], v[64:65], s[6:7], v[56:57]
	v_add_f64 v[2:3], v[124:125], v[2:3]
	v_fma_f64 v[124:125], v[89:90], s[0:1], v[118:119]
	v_add_f64 v[25:26], v[126:127], v[25:26]
	v_add_f64 v[48:49], v[132:133], v[48:49]
	;; [unrolled: 1-line block ×6, first 2 shown]
	v_mul_f64 v[97:98], v[93:94], s[46:47]
	v_add_f64 v[10:11], v[99:100], v[10:11]
	v_add_f64 v[17:18], v[110:111], v[17:18]
	v_mul_f64 v[99:100], v[93:94], s[42:43]
	v_mul_f64 v[93:94], v[93:94], s[18:19]
	;; [unrolled: 1-line block ×3, first 2 shown]
	v_add_f64 v[13:14], v[101:102], v[13:14]
	v_mul_f64 v[101:102], v[91:92], s[14:15]
	v_add_f64 v[44:45], v[52:53], v[44:45]
	v_add_f64 v[40:41], v[95:96], v[40:41]
	v_mul_f64 v[52:53], v[91:92], s[50:51]
	v_mul_f64 v[95:96], v[91:92], s[44:45]
	v_mul_f64 v[91:92], v[91:92], s[20:21]
	v_add_f64 v[126:127], v[139:140], v[134:135]
	v_add_f64 v[58:59], v[122:123], v[58:59]
	;; [unrolled: 1-line block ×4, first 2 shown]
	v_fma_f64 v[108:109], v[64:65], s[28:29], v[60:61]
	v_fma_f64 v[60:61], v[64:65], s[14:15], v[60:61]
	v_fma_f64 v[114:115], v[89:90], s[0:1], -v[118:119]
	v_fma_f64 v[118:119], v[64:65], s[40:41], v[66:67]
	v_fma_f64 v[66:67], v[64:65], s[48:49], v[66:67]
	;; [unrolled: 1-line block ×4, first 2 shown]
	v_mul_f64 v[134:135], v[87:88], s[8:9]
	v_fma_f64 v[128:129], v[64:65], s[52:53], v[99:100]
	v_fma_f64 v[99:100], v[64:65], s[44:45], v[99:100]
	;; [unrolled: 1-line block ×5, first 2 shown]
	v_fma_f64 v[93:94], v[89:90], s[38:39], -v[110:111]
	v_mul_f64 v[136:137], v[85:86], s[14:15]
	v_fma_f64 v[110:111], v[89:90], s[46:47], v[52:53]
	v_fma_f64 v[52:53], v[89:90], s[46:47], -v[52:53]
	v_fma_f64 v[139:140], v[89:90], s[42:43], v[95:96]
	v_add_f64 v[38:39], v[56:57], v[38:39]
	v_mul_f64 v[56:57], v[87:88], s[18:19]
	v_add_f64 v[31:32], v[141:142], v[32:33]
	v_add_f64 v[23:24], v[124:125], v[23:24]
	v_fma_f64 v[124:125], v[89:90], s[8:9], v[101:102]
	v_fma_f64 v[101:102], v[89:90], s[8:9], -v[101:102]
	v_fma_f64 v[95:96], v[89:90], s[42:43], -v[95:96]
	v_fma_f64 v[141:142], v[89:90], s[18:19], v[91:92]
	v_fma_f64 v[89:90], v[89:90], s[18:19], -v[91:92]
	v_mul_f64 v[91:92], v[85:86], s[20:21]
	v_add_f64 v[42:43], v[108:109], v[42:43]
	v_add_f64 v[21:22], v[60:61], v[21:22]
	v_mul_f64 v[60:61], v[87:88], s[38:39]
	v_mul_f64 v[108:109], v[85:86], s[40:41]
	v_add_f64 v[19:20], v[66:67], v[19:20]
	v_fma_f64 v[66:67], v[83:84], s[28:29], v[134:135]
	v_add_f64 v[25:26], v[114:115], v[25:26]
	v_add_f64 v[54:55], v[93:94], v[54:55]
	v_fma_f64 v[93:94], v[81:82], s[8:9], v[136:137]
	v_add_f64 v[2:3], v[110:111], v[2:3]
	;; [unrolled: 3-line block ×3, first 2 shown]
	v_fma_f64 v[112:113], v[83:84], s[24:25], v[56:57]
	v_fma_f64 v[56:57], v[83:84], s[20:21], v[56:57]
	v_add_f64 v[97:98], v[97:98], v[104:105]
	v_fma_f64 v[104:105], v[81:82], s[8:9], -v[136:137]
	v_add_f64 v[50:51], v[101:102], v[50:51]
	v_add_f64 v[101:102], v[118:119], v[120:121]
	;; [unrolled: 1-line block ×4, first 2 shown]
	v_fma_f64 v[114:115], v[81:82], s[18:19], v[91:92]
	v_fma_f64 v[91:92], v[81:82], s[18:19], -v[91:92]
	v_mul_f64 v[64:65], v[87:88], s[16:17]
	v_fma_f64 v[99:100], v[83:84], s[48:49], v[60:61]
	v_fma_f64 v[118:119], v[81:82], s[38:39], v[108:109]
	v_add_f64 v[6:7], v[89:90], v[6:7]
	v_add_f64 v[15:16], v[66:67], v[15:16]
	v_mul_f64 v[66:67], v[87:88], s[0:1]
	v_mul_f64 v[89:90], v[85:86], s[34:35]
	v_add_f64 v[13:14], v[93:94], v[13:14]
	v_mul_f64 v[93:94], v[87:88], s[42:43]
	v_fma_f64 v[60:61], v[83:84], s[40:41], v[60:61]
	v_add_f64 v[10:11], v[52:53], v[10:11]
	v_mul_f64 v[52:53], v[87:88], s[46:47]
	v_mul_f64 v[87:88], v[87:88], s[26:27]
	v_add_f64 v[40:41], v[56:57], v[40:41]
	v_mul_f64 v[56:57], v[85:86], s[44:45]
	v_add_f64 v[17:18], v[104:105], v[17:18]
	;; [unrolled: 2-line block ×3, first 2 shown]
	v_add_f64 v[95:96], v[95:96], v[106:107]
	v_add_f64 v[106:107], v[130:131], v[126:127]
	;; [unrolled: 1-line block ×4, first 2 shown]
	v_mul_f64 v[91:92], v[85:86], s[54:55]
	v_mul_f64 v[85:86], v[85:86], s[30:31]
	v_add_f64 v[44:45], v[114:115], v[44:45]
	v_add_f64 v[36:37], v[99:100], v[36:37]
	v_add_f64 v[23:24], v[118:119], v[23:24]
	v_fma_f64 v[99:100], v[83:84], s[22:23], v[64:65]
	v_fma_f64 v[64:65], v[83:84], s[34:35], v[64:65]
	;; [unrolled: 1-line block ×7, first 2 shown]
	v_fma_f64 v[89:90], v[81:82], s[16:17], -v[89:90]
	v_fma_f64 v[120:121], v[83:84], s[50:51], v[52:53]
	v_fma_f64 v[52:53], v[83:84], s[54:55], v[52:53]
	;; [unrolled: 1-line block ×5, first 2 shown]
	v_mul_f64 v[126:127], v[79:80], s[42:43]
	v_add_f64 v[62:63], v[122:123], v[62:63]
	v_add_f64 v[27:28], v[128:129], v[27:28]
	v_fma_f64 v[108:109], v[81:82], s[38:39], -v[108:109]
	v_fma_f64 v[122:123], v[81:82], s[0:1], v[104:105]
	v_fma_f64 v[104:105], v[81:82], s[0:1], -v[104:105]
	v_fma_f64 v[56:57], v[81:82], s[42:43], -v[56:57]
	v_fma_f64 v[128:129], v[81:82], s[46:47], v[91:92]
	v_fma_f64 v[91:92], v[81:82], s[46:47], -v[91:92]
	v_fma_f64 v[130:131], v[81:82], s[26:27], v[85:86]
	v_fma_f64 v[81:82], v[81:82], s[26:27], -v[85:86]
	v_mul_f64 v[85:86], v[77:78], s[44:45]
	v_add_f64 v[38:39], v[60:61], v[38:39]
	v_mul_f64 v[60:61], v[79:80], s[0:1]
	v_add_f64 v[19:20], v[66:67], v[19:20]
	;; [unrolled: 2-line block ×5, first 2 shown]
	v_add_f64 v[2:3], v[87:88], v[2:3]
	v_fma_f64 v[87:88], v[75:76], s[52:53], v[126:127]
	v_add_f64 v[93:94], v[93:94], v[97:98]
	v_add_f64 v[4:5], v[83:84], v[4:5]
	;; [unrolled: 1-line block ×3, first 2 shown]
	v_mul_f64 v[108:109], v[79:80], s[46:47]
	v_add_f64 v[54:55], v[104:105], v[54:55]
	v_mul_f64 v[83:84], v[79:80], s[16:17]
	v_add_f64 v[21:22], v[64:65], v[21:22]
	v_add_f64 v[64:65], v[112:113], v[101:102]
	v_fma_f64 v[101:102], v[75:76], s[44:45], v[126:127]
	v_add_f64 v[6:7], v[81:82], v[6:7]
	v_fma_f64 v[97:98], v[73:74], s[42:43], v[85:86]
	v_fma_f64 v[85:86], v[73:74], s[42:43], -v[85:86]
	v_fma_f64 v[104:105], v[75:76], s[6:7], v[60:61]
	v_mul_f64 v[112:113], v[79:80], s[26:27]
	v_add_f64 v[8:9], v[56:57], v[8:9]
	v_add_f64 v[56:57], v[128:129], v[110:111]
	v_fma_f64 v[81:82], v[73:74], s[8:9], v[89:90]
	v_fma_f64 v[110:111], v[75:76], s[28:29], v[66:67]
	;; [unrolled: 1-line block ×3, first 2 shown]
	v_add_f64 v[29:30], v[52:53], v[29:30]
	v_fma_f64 v[52:53], v[73:74], s[0:1], v[99:100]
	v_add_f64 v[15:16], v[87:88], v[15:16]
	v_mul_f64 v[87:88], v[79:80], s[18:19]
	v_mul_f64 v[79:80], v[79:80], s[38:39]
	v_fma_f64 v[60:61], v[75:76], s[4:5], v[60:61]
	v_fma_f64 v[99:100], v[73:74], s[0:1], -v[99:100]
	v_add_f64 v[116:117], v[149:150], v[116:117]
	v_add_f64 v[62:63], v[118:119], v[62:63]
	;; [unrolled: 1-line block ×5, first 2 shown]
	v_fma_f64 v[101:102], v[75:76], s[54:55], v[108:109]
	v_add_f64 v[97:98], v[97:98], v[13:14]
	v_add_f64 v[85:86], v[85:86], v[17:18]
	;; [unrolled: 1-line block ×3, first 2 shown]
	v_fma_f64 v[17:18], v[75:76], s[50:51], v[108:109]
	v_fma_f64 v[104:105], v[75:76], s[34:35], v[83:84]
	;; [unrolled: 1-line block ×3, first 2 shown]
	v_add_f64 v[81:82], v[81:82], v[23:24]
	v_add_f64 v[95:96], v[124:125], v[106:107]
	;; [unrolled: 1-line block ×3, first 2 shown]
	v_fma_f64 v[83:84], v[75:76], s[22:23], v[83:84]
	v_add_f64 v[31:32], v[132:133], v[31:32]
	v_mul_f64 v[58:59], v[77:78], s[54:55]
	v_fma_f64 v[23:24], v[75:76], s[24:25], v[87:88]
	v_fma_f64 v[66:67], v[75:76], s[40:41], v[79:80]
	;; [unrolled: 1-line block ×5, first 2 shown]
	v_add_f64 v[44:45], v[52:53], v[44:45]
	v_mul_f64 v[52:53], v[77:78], s[22:23]
	v_add_f64 v[40:41], v[60:61], v[40:41]
	v_mul_f64 v[60:61], v[77:78], s[20:21]
	;; [unrolled: 2-line block ×3, first 2 shown]
	v_mul_f64 v[77:78], v[77:78], s[48:49]
	v_fma_f64 v[89:90], v[73:74], s[8:9], -v[89:90]
	v_add_f64 v[116:117], v[141:142], v[116:117]
	v_add_f64 v[36:37], v[110:111], v[36:37]
	v_add_f64 v[17:18], v[17:18], v[42:43]
	v_add_f64 v[64:65], v[104:105], v[64:65]
	v_add_f64 v[27:28], v[108:109], v[27:28]
	v_add_f64 v[21:22], v[101:102], v[21:22]
	v_add_f64 v[19:20], v[83:84], v[19:20]
	v_add_f64 v[48:49], v[114:115], v[48:49]
	v_add_f64 v[31:32], v[122:123], v[31:32]
	v_add_f64 v[23:24], v[23:24], v[62:63]
	v_add_f64 v[62:63], v[66:67], v[95:96]
	v_add_f64 v[4:5], v[79:80], v[4:5]
	v_add_f64 v[66:67], v[87:88], v[93:94]
	v_add_f64 v[29:30], v[75:76], v[29:30]
	v_fma_f64 v[42:43], v[73:74], s[46:47], v[58:59]
	v_fma_f64 v[58:59], v[73:74], s[46:47], -v[58:59]
	v_fma_f64 v[110:111], v[73:74], s[16:17], v[52:53]
	v_fma_f64 v[52:53], v[73:74], s[16:17], -v[52:53]
	;; [unrolled: 2-line block ×5, first 2 shown]
	v_add_f64 v[74:75], v[89:90], v[25:26]
	v_add_nc_u32_e32 v25, 0, v12
	v_add_f64 v[106:107], v[130:131], v[116:117]
	v_mad_u32_u24 v78, 0x88, v103, v25
	ds_write2_b64 v78, v[0:1], v[15:16] offset1:1
	ds_write2_b64 v78, v[13:14], v[36:37] offset0:2 offset1:3
	ds_write2_b64 v78, v[17:18], v[64:65] offset0:4 offset1:5
	;; [unrolled: 1-line block ×4, first 2 shown]
	v_lshlrev_b32_e32 v0, 3, v103
	ds_write2_b64 v78, v[29:30], v[66:67] offset0:10 offset1:11
	ds_write2_b64 v78, v[19:20], v[21:22] offset0:12 offset1:13
	;; [unrolled: 1-line block ×3, first 2 shown]
	ds_write_b64 v78, v[10:11] offset:128
	v_add_f64 v[42:43], v[42:43], v[48:49]
	v_add_f64 v[48:49], v[58:59], v[50:51]
	;; [unrolled: 1-line block ×3, first 2 shown]
	v_add3_u32 v36, 0, v0, v12
	v_add_nc_u32_e32 v38, v25, v0
	v_add_f64 v[52:53], v[52:53], v[54:55]
	v_add_f64 v[54:55], v[101:102], v[2:3]
	;; [unrolled: 1-line block ×3, first 2 shown]
	v_add_nc_u32_e32 v37, 0x400, v36
	v_add_f64 v[72:73], v[72:73], v[6:7]
	s_waitcnt lgkmcnt(0)
	s_barrier
	buffer_gl0_inv
	ds_read_b64 v[32:33], v38
	ds_read2_b64 v[0:3], v36 offset0:17 offset1:34
	ds_read2_b64 v[4:7], v36 offset0:51 offset1:68
	;; [unrolled: 1-line block ×8, first 2 shown]
	v_add_f64 v[56:57], v[112:113], v[56:57]
	v_add_f64 v[76:77], v[83:84], v[106:107]
	;; [unrolled: 1-line block ×3, first 2 shown]
	s_waitcnt lgkmcnt(0)
	s_barrier
	buffer_gl0_inv
	ds_write2_b64 v78, v[34:35], v[97:98] offset1:1
	ds_write2_b64 v78, v[44:45], v[81:82] offset0:2 offset1:3
	ds_write2_b64 v78, v[42:43], v[50:51] offset0:4 offset1:5
	ds_write2_b64 v78, v[54:55], v[56:57] offset0:6 offset1:7
	ds_write2_b64 v78, v[76:77], v[72:73] offset0:8 offset1:9
	ds_write2_b64 v78, v[60:61], v[58:59] offset0:10 offset1:11
	ds_write2_b64 v78, v[52:53], v[48:49] offset0:12 offset1:13
	ds_write2_b64 v78, v[74:75], v[46:47] offset0:14 offset1:15
	ds_write_b64 v78, v[85:86] offset:128
	s_waitcnt lgkmcnt(0)
	s_barrier
	buffer_gl0_inv
	s_and_saveexec_b32 s33, vcc_lo
	s_cbranch_execz .LBB0_14
; %bb.13:
	v_lshlrev_b32_e32 v34, 4, v103
	v_mov_b32_e32 v35, 0
	v_mul_lo_u32 v181, s57, v70
	v_mul_lo_u32 v182, s56, v71
	v_lshlrev_b64 v[34:35], 4, v[34:35]
	v_add_co_u32 v34, vcc_lo, s12, v34
	v_add_co_ci_u32_e32 v35, vcc_lo, s13, v35, vcc_lo
	s_clause 0xf
	global_load_dwordx4 v[39:42], v[34:35], off offset:112
	global_load_dwordx4 v[43:46], v[34:35], off offset:128
	;; [unrolled: 1-line block ×14, first 2 shown]
	global_load_dwordx4 v[114:117], v[34:35], off
	global_load_dwordx4 v[118:121], v[34:35], off offset:240
	ds_read2_b64 v[98:101], v36 offset0:119 offset1:136
	ds_read2_b64 v[122:125], v36 offset0:153 offset1:170
	;; [unrolled: 1-line block ×8, first 2 shown]
	v_mad_u64_u32 v[34:35], null, s56, v70, 0
	v_add3_u32 v35, v35, v182, v181
	s_waitcnt vmcnt(15)
	v_mul_f64 v[36:37], v[26:27], v[41:42]
	s_waitcnt vmcnt(14)
	v_mul_f64 v[55:56], v[28:29], v[45:46]
	s_waitcnt lgkmcnt(6)
	v_mul_f64 v[45:46], v[122:123], v[45:46]
	s_waitcnt vmcnt(12)
	v_mul_f64 v[70:71], v[30:31], v[53:54]
	s_waitcnt vmcnt(11)
	v_mul_f64 v[151:152], v[14:15], v[60:61]
	v_mul_f64 v[53:54], v[124:125], v[53:54]
	s_waitcnt vmcnt(9)
	v_mul_f64 v[157:158], v[12:13], v[74:75]
	s_waitcnt lgkmcnt(5)
	v_mul_f64 v[161:162], v[126:127], v[74:75]
	s_waitcnt vmcnt(7)
	v_mul_f64 v[163:164], v[6:7], v[84:85]
	s_waitcnt lgkmcnt(3)
	v_mul_f64 v[84:85], v[136:137], v[84:85]
	v_mul_f64 v[153:154], v[20:21], v[66:67]
	;; [unrolled: 1-line block ×5, first 2 shown]
	s_waitcnt vmcnt(1)
	v_mul_f64 v[175:176], v[0:1], v[116:117]
	s_waitcnt vmcnt(0)
	v_mul_f64 v[177:178], v[10:11], v[120:121]
	v_mul_f64 v[167:168], v[4:5], v[96:97]
	;; [unrolled: 1-line block ×3, first 2 shown]
	s_waitcnt lgkmcnt(2)
	v_mul_f64 v[104:105], v[141:142], v[104:105]
	v_mul_f64 v[171:172], v[2:3], v[108:109]
	;; [unrolled: 1-line block ×3, first 2 shown]
	s_waitcnt lgkmcnt(1)
	v_mul_f64 v[108:109], v[145:146], v[108:109]
	s_waitcnt lgkmcnt(0)
	v_mul_f64 v[112:113], v[147:148], v[112:113]
	v_mul_f64 v[116:117], v[143:144], v[116:117]
	;; [unrolled: 1-line block ×3, first 2 shown]
	v_fma_f64 v[60:61], v[124:125], v[51:52], v[70:71]
	v_fma_f64 v[120:121], v[128:129], v[58:59], v[151:152]
	v_mul_f64 v[80:81], v[132:133], v[80:81]
	v_fma_f64 v[124:125], v[126:127], v[72:73], v[157:158]
	v_fma_f64 v[126:127], v[12:13], v[72:73], -v[161:162]
	v_fma_f64 v[128:129], v[136:137], v[82:83], v[163:164]
	v_fma_f64 v[6:7], v[6:7], v[82:83], -v[84:85]
	ds_read_b64 v[84:85], v38
	v_mul_f64 v[96:97], v[134:135], v[96:97]
	v_fma_f64 v[74:75], v[122:123], v[43:44], v[55:56]
	v_fma_f64 v[76:77], v[28:29], v[43:44], -v[45:46]
	v_fma_f64 v[136:137], v[143:144], v[114:115], v[175:176]
	v_fma_f64 v[12:13], v[149:150], v[118:119], v[177:178]
	;; [unrolled: 1-line block ×3, first 2 shown]
	v_fma_f64 v[122:123], v[14:15], v[58:59], -v[155:156]
	v_fma_f64 v[58:59], v[20:21], v[64:65], -v[66:67]
	v_fma_f64 v[44:45], v[132:133], v[78:79], v[159:160]
	v_fma_f64 v[130:131], v[134:135], v[94:95], v[167:168]
	v_fma_f64 v[28:29], v[18:19], v[102:103], -v[104:105]
	v_fma_f64 v[134:135], v[145:146], v[106:107], v[171:172]
	v_fma_f64 v[18:19], v[147:148], v[110:111], v[173:174]
	v_fma_f64 v[132:133], v[2:3], v[106:107], -v[108:109]
	v_fma_f64 v[20:21], v[8:9], v[110:111], -v[112:113]
	;; [unrolled: 1-line block ×4, first 2 shown]
	v_mul_f64 v[62:63], v[24:25], v[49:50]
	v_mul_f64 v[49:50], v[98:99], v[49:50]
	;; [unrolled: 1-line block ×5, first 2 shown]
	v_fma_f64 v[86:87], v[100:101], v[39:40], v[36:37]
	v_fma_f64 v[4:5], v[4:5], v[94:95], -v[96:97]
	s_waitcnt lgkmcnt(0)
	v_add_f64 v[10:11], v[84:85], v[136:137]
	v_add_f64 v[0:1], v[136:137], v[12:13]
	v_add_f64 v[2:3], v[136:137], -v[12:13]
	v_add_f64 v[66:67], v[120:121], v[56:57]
	v_add_f64 v[82:83], v[120:121], -v[56:57]
	v_add_f64 v[96:97], v[124:125], -v[44:45]
	v_add_f64 v[112:113], v[134:135], v[18:19]
	v_add_f64 v[118:119], v[134:135], -v[18:19]
	v_add_f64 v[110:111], v[132:133], v[20:21]
	;; [unrolled: 2-line block ×3, first 2 shown]
	v_add_f64 v[8:9], v[32:33], v[8:9]
	v_fma_f64 v[98:99], v[98:99], v[47:48], v[62:63]
	v_fma_f64 v[100:101], v[24:25], v[47:48], -v[49:50]
	v_fma_f64 v[62:63], v[30:31], v[51:52], -v[53:54]
	v_fma_f64 v[30:31], v[139:140], v[90:91], v[165:166]
	v_fma_f64 v[36:37], v[16:17], v[90:91], -v[92:93]
	v_fma_f64 v[24:25], v[141:142], v[102:103], v[169:170]
	v_add_f64 v[10:11], v[134:135], v[10:11]
	v_mul_f64 v[151:152], v[0:1], s[42:43]
	v_mul_f64 v[167:168], v[2:3], s[44:45]
	;; [unrolled: 1-line block ×4, first 2 shown]
	v_add_f64 v[92:93], v[132:133], -v[20:21]
	v_mul_f64 v[213:214], v[2:3], s[22:23]
	v_fma_f64 v[46:47], v[22:23], v[78:79], -v[80:81]
	v_add_f64 v[78:79], v[4:5], -v[28:29]
	v_mul_f64 v[149:150], v[112:113], s[0:1]
	v_mul_f64 v[165:166], v[118:119], s[4:5]
	;; [unrolled: 1-line block ×4, first 2 shown]
	v_add_f64 v[102:103], v[4:5], v[28:29]
	v_mul_f64 v[207:208], v[112:113], s[26:27]
	v_add_f64 v[8:9], v[132:133], v[8:9]
	v_mul_f64 v[132:133], v[0:1], s[16:17]
	v_mul_f64 v[209:210], v[118:119], s[36:37]
	;; [unrolled: 1-line block ×3, first 2 shown]
	v_add_f64 v[94:95], v[128:129], v[30:31]
	v_add_f64 v[108:109], v[128:129], -v[30:31]
	v_add_f64 v[106:107], v[130:131], v[24:25]
	v_add_f64 v[10:11], v[130:131], v[10:11]
	v_fma_f64 v[211:212], v[104:105], s[52:53], v[151:152]
	v_fma_f64 v[221:222], v[116:117], s[42:43], v[167:168]
	v_fma_f64 v[167:168], v[116:117], s[42:43], -v[167:168]
	v_fma_f64 v[231:232], v[104:105], s[28:29], v[183:184]
	v_fma_f64 v[239:240], v[116:117], s[8:9], v[134:135]
	;; [unrolled: 1-line block ×3, first 2 shown]
	v_add_f64 v[114:115], v[130:131], -v[24:25]
	v_mul_f64 v[223:224], v[2:3], s[30:31]
	v_mul_f64 v[227:228], v[0:1], s[38:39]
	v_fma_f64 v[151:152], v[104:105], s[44:45], v[151:152]
	v_mul_f64 v[130:131], v[2:3], s[40:41]
	v_fma_f64 v[243:244], v[110:111], s[0:1], v[165:166]
	v_fma_f64 v[165:166], v[110:111], s[0:1], -v[165:166]
	v_fma_f64 v[245:246], v[92:93], s[24:25], v[181:182]
	v_add_f64 v[4:5], v[4:5], v[8:9]
	v_fma_f64 v[8:9], v[92:93], s[6:7], v[149:150]
	v_fma_f64 v[134:135], v[116:117], s[8:9], -v[134:135]
	v_fma_f64 v[247:248], v[104:105], s[34:35], v[132:133]
	v_fma_f64 v[249:250], v[110:111], s[18:19], v[197:198]
	v_fma_f64 v[181:182], v[92:93], s[20:21], v[181:182]
	v_fma_f64 v[132:133], v[104:105], s[22:23], v[132:133]
	v_add_f64 v[10:11], v[128:129], v[10:11]
	v_add_f64 v[211:212], v[84:85], v[211:212]
	;; [unrolled: 1-line block ×4, first 2 shown]
	v_fma_f64 v[128:129], v[116:117], s[16:17], v[213:214]
	v_add_f64 v[239:240], v[32:33], v[239:240]
	v_add_f64 v[183:184], v[84:85], v[183:184]
	v_add_f64 v[64:65], v[6:7], -v[36:37]
	v_add_f64 v[90:91], v[6:7], v[36:37]
	v_mul_f64 v[215:216], v[112:113], s[8:9]
	v_mul_f64 v[219:220], v[118:119], s[28:29]
	;; [unrolled: 1-line block ×6, first 2 shown]
	v_fma_f64 v[149:150], v[92:93], s[4:5], v[149:150]
	v_add_f64 v[151:152], v[84:85], v[151:152]
	v_add_f64 v[231:232], v[84:85], v[231:232]
	v_fma_f64 v[197:198], v[110:111], s[18:19], -v[197:198]
	v_add_f64 v[4:5], v[6:7], v[4:5]
	v_fma_f64 v[6:7], v[92:93], s[30:31], v[207:208]
	v_fma_f64 v[207:208], v[92:93], s[36:37], v[207:208]
	v_fma_f64 v[213:214], v[116:117], s[16:17], -v[213:214]
	v_add_f64 v[8:9], v[8:9], v[211:212]
	v_fma_f64 v[211:212], v[110:111], s[26:27], v[209:210]
	v_add_f64 v[221:222], v[243:244], v[221:222]
	v_fma_f64 v[243:244], v[104:105], s[36:37], v[217:218]
	v_add_f64 v[134:135], v[32:33], v[134:135]
	v_add_f64 v[247:248], v[84:85], v[247:248]
	;; [unrolled: 1-line block ×3, first 2 shown]
	v_fma_f64 v[167:168], v[116:117], s[26:27], v[223:224]
	v_add_f64 v[128:129], v[32:33], v[128:129]
	v_fma_f64 v[217:218], v[104:105], s[30:31], v[217:218]
	v_fma_f64 v[223:224], v[116:117], s[26:27], -v[223:224]
	v_add_f64 v[132:133], v[84:85], v[132:133]
	v_add_f64 v[239:240], v[249:250], v[239:240]
	v_fma_f64 v[249:250], v[104:105], s[48:49], v[227:228]
	v_add_f64 v[181:182], v[181:182], v[183:184]
	v_fma_f64 v[183:184], v[116:117], s[38:39], v[130:131]
	v_mul_f64 v[147:148], v[106:107], s[8:9]
	v_mul_f64 v[163:164], v[114:115], s[14:15]
	;; [unrolled: 1-line block ×4, first 2 shown]
	v_fma_f64 v[209:210], v[110:111], s[26:27], -v[209:210]
	v_add_f64 v[149:150], v[149:150], v[151:152]
	v_fma_f64 v[151:152], v[92:93], s[14:15], v[215:216]
	v_add_f64 v[231:232], v[245:246], v[231:232]
	v_fma_f64 v[245:246], v[110:111], s[8:9], v[219:220]
	v_fma_f64 v[215:216], v[92:93], s[28:29], v[215:216]
	v_add_f64 v[213:214], v[32:33], v[213:214]
	v_fma_f64 v[219:220], v[110:111], s[8:9], -v[219:220]
	v_add_f64 v[243:244], v[84:85], v[243:244]
	v_add_f64 v[134:135], v[197:198], v[134:135]
	v_fma_f64 v[197:198], v[104:105], s[20:21], v[235:236]
	v_add_f64 v[6:7], v[6:7], v[247:248]
	v_fma_f64 v[247:248], v[116:117], s[18:19], v[241:242]
	v_fma_f64 v[235:236], v[104:105], s[24:25], v[235:236]
	v_fma_f64 v[241:242], v[116:117], s[18:19], -v[241:242]
	v_add_f64 v[128:129], v[211:212], v[128:129]
	v_fma_f64 v[211:212], v[92:93], s[52:53], v[225:226]
	v_add_f64 v[217:218], v[84:85], v[217:218]
	v_add_f64 v[223:224], v[32:33], v[223:224]
	;; [unrolled: 1-line block ×3, first 2 shown]
	v_fma_f64 v[207:208], v[110:111], s[42:43], v[229:230]
	v_add_f64 v[249:250], v[84:85], v[249:250]
	v_add_f64 v[183:184], v[32:33], v[183:184]
	v_mul_f64 v[179:180], v[106:107], s[38:39]
	v_mul_f64 v[195:196], v[114:115], s[40:41]
	v_fma_f64 v[227:228], v[104:105], s[40:41], v[227:228]
	v_fma_f64 v[130:131], v[116:117], s[38:39], -v[130:131]
	v_add_f64 v[80:81], v[124:125], v[44:45]
	v_add_f64 v[209:210], v[209:210], v[213:214]
	v_fma_f64 v[213:214], v[92:93], s[34:35], v[233:234]
	v_add_f64 v[151:152], v[151:152], v[243:244]
	v_fma_f64 v[243:244], v[110:111], s[16:17], v[237:238]
	;; [unrolled: 2-line block ×3, first 2 shown]
	v_add_f64 v[247:248], v[32:33], v[247:248]
	v_fma_f64 v[237:238], v[110:111], s[16:17], -v[237:238]
	v_add_f64 v[235:236], v[84:85], v[235:236]
	v_add_f64 v[241:242], v[32:33], v[241:242]
	v_add_f64 v[48:49], v[126:127], -v[46:47]
	v_add_f64 v[215:216], v[215:216], v[217:218]
	v_mul_f64 v[217:218], v[106:107], s[0:1]
	v_add_f64 v[219:220], v[219:220], v[223:224]
	v_mul_f64 v[223:224], v[114:115], s[6:7]
	v_add_f64 v[211:212], v[211:212], v[249:250]
	v_fma_f64 v[249:250], v[78:79], s[28:29], v[147:148]
	v_add_f64 v[183:184], v[207:208], v[183:184]
	v_fma_f64 v[207:208], v[102:103], s[8:9], v[163:164]
	;; [unrolled: 2-line block ×3, first 2 shown]
	v_fma_f64 v[229:230], v[110:111], s[42:43], -v[229:230]
	v_add_f64 v[227:228], v[84:85], v[227:228]
	v_add_f64 v[130:131], v[32:33], v[130:131]
	;; [unrolled: 1-line block ×5, first 2 shown]
	v_fma_f64 v[213:214], v[78:79], s[48:49], v[179:180]
	v_add_f64 v[243:244], v[243:244], v[247:248]
	v_fma_f64 v[247:248], v[102:103], s[38:39], v[195:196]
	v_add_f64 v[233:234], v[233:234], v[235:236]
	v_mul_f64 v[235:236], v[106:107], s[26:27]
	v_add_f64 v[237:238], v[237:238], v[241:242]
	v_mul_f64 v[241:242], v[114:115], s[36:37]
	v_fma_f64 v[179:180], v[78:79], s[40:41], v[179:180]
	v_fma_f64 v[195:196], v[102:103], s[38:39], -v[195:196]
	v_fma_f64 v[124:125], v[78:79], s[4:5], v[217:218]
	v_mul_f64 v[126:127], v[106:107], s[42:43]
	v_add_f64 v[8:9], v[249:250], v[8:9]
	v_fma_f64 v[249:250], v[102:103], s[0:1], v[223:224]
	v_add_f64 v[207:208], v[207:208], v[221:222]
	v_mul_f64 v[221:222], v[114:115], s[52:53]
	v_fma_f64 v[217:218], v[78:79], s[6:7], v[217:218]
	v_fma_f64 v[223:224], v[102:103], s[0:1], -v[223:224]
	v_mul_f64 v[145:146], v[94:95], s[46:47]
	v_mul_f64 v[161:162], v[108:109], s[54:55]
	;; [unrolled: 1-line block ×3, first 2 shown]
	v_add_f64 v[167:168], v[32:33], v[167:168]
	v_add_f64 v[225:226], v[225:226], v[227:228]
	v_mul_f64 v[227:228], v[106:107], s[46:47]
	v_add_f64 v[130:131], v[229:230], v[130:131]
	v_mul_f64 v[229:230], v[114:115], s[54:55]
	v_fma_f64 v[147:148], v[78:79], s[14:15], v[147:148]
	v_fma_f64 v[163:164], v[102:103], s[8:9], -v[163:164]
	v_add_f64 v[213:214], v[213:214], v[231:232]
	v_fma_f64 v[88:89], v[26:27], v[39:40], -v[41:42]
	v_add_f64 v[179:180], v[179:180], v[181:182]
	v_fma_f64 v[181:182], v[78:79], s[30:31], v[235:236]
	v_add_f64 v[134:135], v[195:196], v[134:135]
	v_fma_f64 v[195:196], v[102:103], s[26:27], v[241:242]
	v_fma_f64 v[241:242], v[102:103], s[26:27], -v[241:242]
	v_add_f64 v[38:39], v[122:123], -v[58:59]
	v_add_f64 v[52:53], v[122:123], v[58:59]
	v_mul_f64 v[143:144], v[80:81], s[16:17]
	v_add_f64 v[132:133], v[217:218], v[132:133]
	v_fma_f64 v[217:218], v[78:79], s[44:45], v[126:127]
	v_add_f64 v[209:210], v[223:224], v[209:210]
	v_fma_f64 v[223:224], v[102:103], s[42:43], v[221:222]
	v_fma_f64 v[221:222], v[102:103], s[42:43], -v[221:222]
	v_add_f64 v[167:168], v[245:246], v[167:168]
	v_mul_f64 v[245:246], v[94:95], s[8:9]
	v_mul_f64 v[159:160], v[96:97], s[22:23]
	;; [unrolled: 1-line block ×3, first 2 shown]
	v_fma_f64 v[231:232], v[102:103], s[46:47], v[229:230]
	v_add_f64 v[147:148], v[147:148], v[149:150]
	v_fma_f64 v[149:150], v[78:79], s[50:51], v[227:228]
	v_fma_f64 v[227:228], v[78:79], s[54:55], v[227:228]
	v_add_f64 v[163:164], v[163:164], v[165:166]
	v_add_f64 v[6:7], v[124:125], v[6:7]
	;; [unrolled: 1-line block ×3, first 2 shown]
	v_fma_f64 v[211:212], v[64:65], s[50:51], v[145:146]
	v_add_f64 v[183:184], v[195:196], v[183:184]
	v_fma_f64 v[195:196], v[90:91], s[46:47], v[161:162]
	v_add_f64 v[130:131], v[241:242], v[130:131]
	v_mul_f64 v[241:242], v[94:95], s[18:19]
	v_fma_f64 v[235:236], v[78:79], s[36:37], v[235:236]
	v_fma_f64 v[126:127], v[78:79], s[52:53], v[126:127]
	v_add_f64 v[197:198], v[217:218], v[197:198]
	v_fma_f64 v[217:218], v[64:65], s[22:23], v[177:178]
	v_add_f64 v[223:224], v[223:224], v[243:244]
	v_mul_f64 v[243:244], v[108:109], s[24:25]
	v_fma_f64 v[145:146], v[64:65], s[54:55], v[145:146]
	v_fma_f64 v[161:162], v[90:91], s[46:47], -v[161:162]
	v_add_f64 v[221:222], v[221:222], v[237:238]
	v_mul_f64 v[237:238], v[94:95], s[0:1]
	v_add_f64 v[167:168], v[231:232], v[167:168]
	v_fma_f64 v[177:178], v[64:65], s[34:35], v[177:178]
	v_add_f64 v[149:150], v[149:150], v[151:152]
	v_mul_f64 v[151:152], v[108:109], s[14:15]
	v_add_f64 v[215:216], v[227:228], v[215:216]
	v_add_f64 v[251:252], v[120:121], v[10:11]
	v_fma_f64 v[10:11], v[64:65], s[28:29], v[245:246]
	v_add_f64 v[253:254], v[122:123], v[4:5]
	v_mul_f64 v[4:5], v[108:109], s[4:5]
	v_add_f64 v[8:9], v[211:212], v[8:9]
	v_add_f64 v[122:123], v[195:196], v[207:208]
	v_mul_f64 v[195:196], v[94:95], s[26:27]
	v_fma_f64 v[207:208], v[64:65], s[14:15], v[245:246]
	v_mul_f64 v[175:176], v[80:81], s[0:1]
	v_mul_f64 v[191:192], v[96:97], s[6:7]
	v_add_f64 v[211:212], v[217:218], v[213:214]
	v_fma_f64 v[217:218], v[64:65], s[24:25], v[241:242]
	v_fma_f64 v[213:214], v[90:91], s[18:19], v[243:244]
	v_add_f64 v[128:129], v[249:250], v[128:129]
	v_mul_f64 v[249:250], v[96:97], s[48:49]
	v_add_f64 v[225:226], v[235:236], v[225:226]
	v_mul_f64 v[235:236], v[80:81], s[42:43]
	v_add_f64 v[126:127], v[126:127], v[233:234]
	v_fma_f64 v[233:234], v[90:91], s[16:17], v[193:194]
	v_fma_f64 v[193:194], v[90:91], s[16:17], -v[193:194]
	v_fma_f64 v[120:121], v[90:91], s[8:9], v[151:152]
	v_fma_f64 v[151:152], v[90:91], s[8:9], -v[151:152]
	v_add_f64 v[145:146], v[145:146], v[147:148]
	v_fma_f64 v[147:148], v[64:65], s[20:21], v[241:242]
	v_add_f64 v[161:162], v[161:162], v[163:164]
	v_mul_f64 v[163:164], v[108:109], s[36:37]
	v_add_f64 v[177:178], v[177:178], v[179:180]
	v_fma_f64 v[179:180], v[64:65], s[6:7], v[237:238]
	v_add_f64 v[6:7], v[10:11], v[6:7]
	v_fma_f64 v[10:11], v[90:91], s[0:1], v[4:5]
	v_fma_f64 v[237:238], v[64:65], s[4:5], v[237:238]
	v_fma_f64 v[4:5], v[90:91], s[0:1], -v[4:5]
	v_add_f64 v[132:133], v[207:208], v[132:133]
	v_fma_f64 v[207:208], v[64:65], s[30:31], v[195:196]
	v_add_f64 v[167:168], v[213:214], v[167:168]
	v_fma_f64 v[213:214], v[48:49], s[34:35], v[143:144]
	;; [unrolled: 2-line block ×3, first 2 shown]
	v_fma_f64 v[143:144], v[48:49], s[22:23], v[143:144]
	v_mul_f64 v[141:142], v[66:67], s[18:19]
	v_mul_f64 v[205:206], v[80:81], s[38:39]
	v_fma_f64 v[229:230], v[102:103], s[46:47], -v[229:230]
	v_fma_f64 v[241:242], v[90:91], s[18:19], -v[243:244]
	v_add_f64 v[134:135], v[193:194], v[134:135]
	v_add_f64 v[151:152], v[151:152], v[209:210]
	v_mul_f64 v[209:210], v[96:97], s[44:45]
	v_add_f64 v[147:148], v[147:148], v[149:150]
	v_fma_f64 v[149:150], v[90:91], s[26:27], v[163:164]
	v_fma_f64 v[159:160], v[70:71], s[16:17], -v[159:160]
	v_fma_f64 v[243:244], v[70:71], s[38:39], -v[249:250]
	v_add_f64 v[50:51], v[98:99], v[60:61]
	v_add_f64 v[10:11], v[10:11], v[183:184]
	v_fma_f64 v[183:184], v[48:49], s[4:5], v[175:176]
	v_add_f64 v[225:226], v[237:238], v[225:226]
	v_mul_f64 v[237:238], v[80:81], s[18:19]
	v_add_f64 v[4:5], v[4:5], v[130:131]
	v_fma_f64 v[130:131], v[70:71], s[0:1], v[191:192]
	v_add_f64 v[197:198], v[207:208], v[197:198]
	v_mul_f64 v[207:208], v[96:97], s[24:25]
	v_fma_f64 v[175:176], v[48:49], s[6:7], v[175:176]
	v_fma_f64 v[191:192], v[70:71], s[0:1], -v[191:192]
	v_add_f64 v[122:123], v[217:218], v[122:123]
	v_mul_f64 v[217:218], v[96:97], s[54:55]
	v_add_f64 v[143:144], v[143:144], v[145:146]
	v_fma_f64 v[145:146], v[48:49], s[52:53], v[235:236]
	v_add_f64 v[72:73], v[98:99], -v[60:61]
	v_mul_f64 v[157:158], v[82:83], s[20:21]
	v_mul_f64 v[173:174], v[66:67], s[42:43]
	v_mul_f64 v[189:190], v[82:83], s[44:45]
	v_mul_f64 v[203:204], v[66:67], s[46:47]
	v_add_f64 v[239:240], v[247:248], v[239:240]
	v_mul_f64 v[124:125], v[82:83], s[50:51]
	v_add_f64 v[219:220], v[229:230], v[219:220]
	v_add_f64 v[120:121], v[120:121], v[128:129]
	;; [unrolled: 1-line block ×3, first 2 shown]
	v_fma_f64 v[223:224], v[48:49], s[40:41], v[205:206]
	v_add_f64 v[8:9], v[213:214], v[8:9]
	v_fma_f64 v[213:214], v[70:71], s[38:39], v[249:250]
	v_fma_f64 v[205:206], v[48:49], s[48:49], v[205:206]
	v_add_f64 v[159:160], v[159:160], v[161:162]
	v_fma_f64 v[161:162], v[70:71], s[42:43], v[209:210]
	v_add_f64 v[175:176], v[175:176], v[177:178]
	;; [unrolled: 2-line block ×3, first 2 shown]
	v_fma_f64 v[191:192], v[70:71], s[18:19], v[207:208]
	v_fma_f64 v[237:238], v[48:49], s[24:25], v[237:238]
	v_add_f64 v[151:152], v[243:244], v[151:152]
	v_fma_f64 v[243:244], v[70:71], s[46:47], v[217:218]
	v_add_f64 v[145:146], v[145:146], v[147:148]
	v_fma_f64 v[147:148], v[38:39], s[24:25], v[141:142]
	v_add_f64 v[26:27], v[100:101], -v[62:63]
	v_add_f64 v[40:41], v[100:101], v[62:63]
	v_mul_f64 v[139:140], v[50:51], s[26:27]
	v_mul_f64 v[155:156], v[72:73], s[30:31]
	;; [unrolled: 1-line block ×3, first 2 shown]
	v_add_f64 v[233:234], v[233:234], v[239:240]
	v_mul_f64 v[128:129], v[82:83], s[48:49]
	v_fma_f64 v[195:196], v[64:65], s[36:37], v[195:196]
	v_add_f64 v[219:220], v[241:242], v[219:220]
	v_add_f64 v[183:184], v[183:184], v[211:212]
	v_fma_f64 v[209:210], v[70:71], s[42:43], -v[209:210]
	v_add_f64 v[120:121], v[213:214], v[120:121]
	v_mul_f64 v[213:214], v[82:83], s[14:15]
	v_add_f64 v[132:133], v[205:206], v[132:133]
	v_add_f64 v[161:162], v[161:162], v[167:168]
	v_fma_f64 v[167:168], v[52:53], s[18:19], v[157:158]
	v_fma_f64 v[141:142], v[38:39], s[20:21], v[141:142]
	v_fma_f64 v[157:158], v[52:53], s[18:19], -v[157:158]
	v_add_f64 v[10:11], v[191:192], v[10:11]
	v_fma_f64 v[191:192], v[38:39], s[52:53], v[173:174]
	v_add_f64 v[225:226], v[237:238], v[225:226]
	v_fma_f64 v[237:238], v[52:53], s[42:43], v[189:190]
	v_fma_f64 v[189:190], v[52:53], s[42:43], -v[189:190]
	v_add_f64 v[149:150], v[243:244], v[149:150]
	v_fma_f64 v[243:244], v[38:39], s[54:55], v[203:204]
	v_add_f64 v[8:9], v[147:148], v[8:9]
	v_fma_f64 v[147:148], v[52:53], s[46:47], v[124:125]
	v_fma_f64 v[203:204], v[38:39], s[50:51], v[203:204]
	v_fma_f64 v[124:125], v[52:53], s[46:47], -v[124:125]
	v_add_f64 v[42:43], v[86:87], v[74:75]
	v_add_f64 v[54:55], v[86:87], -v[74:75]
	v_mul_f64 v[171:172], v[50:51], s[46:47]
	v_mul_f64 v[187:188], v[72:73], s[54:55]
	;; [unrolled: 1-line block ×6, first 2 shown]
	v_add_f64 v[179:180], v[179:180], v[181:182]
	v_add_f64 v[195:196], v[195:196], v[126:127]
	v_mul_f64 v[126:127], v[80:81], s[46:47]
	v_mul_f64 v[211:212], v[66:67], s[8:9]
	v_fma_f64 v[235:236], v[48:49], s[44:45], v[235:236]
	v_add_f64 v[130:131], v[130:131], v[233:234]
	v_add_f64 v[6:7], v[223:224], v[6:7]
	;; [unrolled: 1-line block ×3, first 2 shown]
	v_fma_f64 v[173:174], v[38:39], s[44:45], v[173:174]
	v_add_f64 v[122:123], v[167:168], v[122:123]
	v_add_f64 v[141:142], v[141:142], v[143:144]
	v_mul_f64 v[143:144], v[0:1], s[46:47]
	v_add_f64 v[157:158], v[157:158], v[159:160]
	v_mul_f64 v[159:160], v[2:3], s[50:51]
	v_mul_f64 v[245:246], v[0:1], s[0:1]
	;; [unrolled: 1-line block ×3, first 2 shown]
	v_add_f64 v[0:1], v[191:192], v[183:184]
	v_fma_f64 v[2:3], v[38:39], s[40:41], v[229:230]
	v_fma_f64 v[183:184], v[52:53], s[38:39], v[128:129]
	v_fma_f64 v[128:129], v[52:53], s[38:39], -v[128:129]
	v_add_f64 v[134:135], v[189:190], v[134:135]
	v_fma_f64 v[189:190], v[26:27], s[36:37], v[139:140]
	v_add_f64 v[132:133], v[203:204], v[132:133]
	v_fma_f64 v[203:204], v[52:53], s[8:9], v[213:214]
	;; [unrolled: 2-line block ×3, first 2 shown]
	v_fma_f64 v[139:140], v[26:27], s[30:31], v[139:140]
	v_fma_f64 v[155:156], v[40:41], s[26:27], -v[155:156]
	v_add_f64 v[16:17], v[88:89], -v[76:77]
	v_add_f64 v[22:23], v[88:89], v[76:77]
	v_mul_f64 v[153:154], v[54:55], s[48:49]
	v_mul_f64 v[169:170], v[42:43], s[26:27]
	;; [unrolled: 1-line block ×8, first 2 shown]
	v_fma_f64 v[205:206], v[48:49], s[50:51], v[126:127]
	v_add_f64 v[215:216], v[235:236], v[215:216]
	v_add_f64 v[177:178], v[177:178], v[179:180]
	v_mul_f64 v[179:180], v[66:67], s[0:1]
	v_add_f64 v[130:131], v[237:238], v[130:131]
	v_fma_f64 v[191:192], v[38:39], s[48:49], v[229:230]
	v_add_f64 v[173:174], v[173:174], v[175:176]
	v_add_f64 v[6:7], v[243:244], v[6:7]
	;; [unrolled: 1-line block ×3, first 2 shown]
	v_fma_f64 v[147:148], v[38:39], s[28:29], v[211:212]
	v_fma_f64 v[211:212], v[38:39], s[14:15], v[211:212]
	v_add_f64 v[2:3], v[2:3], v[145:146]
	v_add_f64 v[161:162], v[183:184], v[161:162]
	v_fma_f64 v[183:184], v[26:27], s[50:51], v[171:172]
	v_add_f64 v[128:129], v[128:129], v[209:210]
	v_fma_f64 v[209:210], v[40:41], s[46:47], v[187:188]
	v_fma_f64 v[171:172], v[26:27], s[54:55], v[171:172]
	v_fma_f64 v[187:188], v[40:41], s[46:47], -v[187:188]
	v_add_f64 v[10:11], v[203:204], v[10:11]
	v_fma_f64 v[203:204], v[26:27], s[52:53], v[201:202]
	v_fma_f64 v[201:202], v[26:27], s[44:45], v[201:202]
	v_fma_f64 v[237:238], v[40:41], s[42:43], -v[247:248]
	v_add_f64 v[151:152], v[151:152], v[122:123]
	v_add_f64 v[139:140], v[139:140], v[141:142]
	v_fma_f64 v[122:123], v[26:27], s[4:5], v[227:228]
	v_add_f64 v[141:142], v[155:156], v[157:158]
	v_fma_f64 v[157:158], v[40:41], s[0:1], v[193:194]
	v_mul_f64 v[136:137], v[42:43], s[38:39]
	v_mul_f64 v[231:232], v[42:43], s[16:17]
	v_add_f64 v[197:198], v[205:206], v[197:198]
	v_mul_f64 v[167:168], v[82:83], s[6:7]
	v_fma_f64 v[229:230], v[22:23], s[38:39], v[153:154]
	v_fma_f64 v[153:154], v[22:23], s[38:39], -v[153:154]
	v_fma_f64 v[145:146], v[16:17], s[36:37], v[169:170]
	v_add_f64 v[191:192], v[191:192], v[215:216]
	v_fma_f64 v[215:216], v[22:23], s[26:27], v[185:186]
	v_fma_f64 v[185:186], v[22:23], s[26:27], -v[185:186]
	v_add_f64 v[147:148], v[147:148], v[177:178]
	v_fma_f64 v[177:178], v[16:17], s[24:25], v[199:200]
	v_add_f64 v[211:212], v[211:212], v[225:226]
	v_fma_f64 v[225:226], v[22:23], s[18:19], v[165:166]
	v_fma_f64 v[199:200], v[16:17], s[20:21], v[199:200]
	v_fma_f64 v[165:166], v[22:23], s[18:19], -v[165:166]
	v_fma_f64 v[155:156], v[22:23], s[16:17], v[239:240]
	v_add_f64 v[0:1], v[183:184], v[0:1]
	v_fma_f64 v[227:228], v[26:27], s[6:7], v[227:228]
	v_fma_f64 v[193:194], v[40:41], s[0:1], -v[193:194]
	v_add_f64 v[130:131], v[209:210], v[130:131]
	v_fma_f64 v[209:210], v[26:27], s[22:23], v[181:182]
	v_add_f64 v[171:172], v[171:172], v[173:174]
	v_fma_f64 v[173:174], v[38:39], s[4:5], v[179:180]
	v_add_f64 v[134:135], v[187:188], v[134:135]
	v_add_f64 v[6:7], v[203:204], v[6:7]
	v_fma_f64 v[203:204], v[40:41], s[16:17], v[223:224]
	v_add_f64 v[132:133], v[201:202], v[132:133]
	v_add_f64 v[237:238], v[237:238], v[124:125]
	;; [unrolled: 1-line block ×3, first 2 shown]
	v_fma_f64 v[122:123], v[48:49], s[54:55], v[126:127]
	v_fma_f64 v[163:164], v[90:91], s[26:27], -v[163:164]
	v_add_f64 v[157:158], v[157:158], v[161:162]
	v_fma_f64 v[207:208], v[70:71], s[18:19], -v[207:208]
	v_fma_f64 v[175:176], v[16:17], s[40:41], v[136:137]
	v_add_f64 v[8:9], v[189:190], v[8:9]
	v_fma_f64 v[189:190], v[40:41], s[42:43], v[247:248]
	v_fma_f64 v[183:184], v[16:17], s[22:23], v[231:232]
	;; [unrolled: 1-line block ×3, first 2 shown]
	v_add_f64 v[124:125], v[153:154], v[141:142]
	v_add_f64 v[161:162], v[227:228], v[191:192]
	;; [unrolled: 1-line block ×3, first 2 shown]
	v_mul_f64 v[153:154], v[112:113], s[38:39]
	v_add_f64 v[98:99], v[98:99], v[251:252]
	v_add_f64 v[100:101], v[100:101], v[253:254]
	v_add_f64 v[173:174], v[173:174], v[197:198]
	v_add_f64 v[197:198], v[209:210], v[147:148]
	v_add_f64 v[147:148], v[229:230], v[151:152]
	v_add_f64 v[203:204], v[203:204], v[10:11]
	v_add_f64 v[10:11], v[145:146], v[0:1]
	v_add_f64 v[128:129], v[185:186], v[134:135]
	v_add_f64 v[134:135], v[199:200], v[132:133]
	v_add_f64 v[132:133], v[165:166], v[237:238]
	v_fma_f64 v[145:146], v[38:39], s[6:7], v[179:180]
	v_add_f64 v[0:1], v[155:156], v[157:158]
	v_fma_f64 v[151:152], v[70:71], s[46:47], -v[217:218]
	v_fma_f64 v[155:156], v[104:105], s[54:55], v[143:144]
	v_add_f64 v[157:158], v[163:164], v[221:222]
	v_add_f64 v[122:123], v[122:123], v[195:196]
	v_mul_f64 v[163:164], v[118:119], s[40:41]
	v_fma_f64 v[165:166], v[116:117], s[46:47], v[159:160]
	v_fma_f64 v[143:144], v[104:105], s[50:51], v[143:144]
	v_fma_f64 v[159:160], v[116:117], s[46:47], -v[159:160]
	v_add_f64 v[4:5], v[207:208], v[4:5]
	v_fma_f64 v[136:137], v[16:17], s[48:49], v[136:137]
	v_fma_f64 v[243:244], v[16:17], s[34:35], v[231:232]
	v_fma_f64 v[213:214], v[52:53], s[8:9], -v[213:214]
	v_fma_f64 v[231:232], v[22:23], s[16:17], -v[239:240]
	v_add_f64 v[189:190], v[189:190], v[120:121]
	v_add_f64 v[187:188], v[187:188], v[149:150]
	;; [unrolled: 1-line block ×4, first 2 shown]
	v_mul_f64 v[112:113], v[112:113], s[46:47]
	v_fma_f64 v[175:176], v[104:105], s[4:5], v[245:246]
	v_fma_f64 v[167:168], v[52:53], s[0:1], -v[167:168]
	v_mul_f64 v[183:184], v[106:107], s[16:17]
	v_fma_f64 v[185:186], v[92:93], s[48:49], v[153:154]
	v_add_f64 v[86:87], v[86:87], v[98:99]
	v_add_f64 v[155:156], v[84:85], v[155:156]
	;; [unrolled: 1-line block ×4, first 2 shown]
	v_mul_f64 v[145:146], v[114:115], s[22:23]
	v_add_f64 v[88:89], v[88:89], v[100:101]
	v_fma_f64 v[98:99], v[110:111], s[38:39], v[163:164]
	v_add_f64 v[100:101], v[32:33], v[165:166]
	v_fma_f64 v[153:154], v[92:93], s[40:41], v[153:154]
	v_add_f64 v[143:144], v[84:85], v[143:144]
	v_fma_f64 v[157:158], v[110:111], s[38:39], -v[163:164]
	v_add_f64 v[159:160], v[32:33], v[159:160]
	v_add_f64 v[6:7], v[177:178], v[6:7]
	v_mul_f64 v[118:119], v[118:119], s[50:51]
	v_fma_f64 v[177:178], v[116:117], s[0:1], v[249:250]
	v_add_f64 v[193:194], v[213:214], v[4:5]
	v_add_f64 v[126:127], v[136:137], v[139:140]
	;; [unrolled: 1-line block ×4, first 2 shown]
	v_fma_f64 v[163:164], v[92:93], s[54:55], v[112:113]
	v_add_f64 v[165:166], v[84:85], v[175:176]
	v_mul_f64 v[189:190], v[94:95], s[42:43]
	v_fma_f64 v[104:105], v[104:105], s[6:7], v[245:246]
	v_fma_f64 v[191:192], v[78:79], s[34:35], v[183:184]
	v_add_f64 v[155:156], v[185:186], v[155:156]
	v_add_f64 v[151:152], v[167:168], v[151:152]
	v_fma_f64 v[116:117], v[116:117], s[0:1], -v[249:250]
	v_mul_f64 v[167:168], v[108:109], s[44:45]
	v_add_f64 v[74:75], v[74:75], v[86:87]
	v_add_f64 v[76:77], v[76:77], v[88:89]
	v_fma_f64 v[86:87], v[102:103], s[16:17], v[145:146]
	v_add_f64 v[88:89], v[98:99], v[100:101]
	v_fma_f64 v[98:99], v[78:79], s[22:23], v[183:184]
	v_add_f64 v[100:101], v[153:154], v[143:144]
	v_fma_f64 v[143:144], v[102:103], s[16:17], -v[145:146]
	v_add_f64 v[145:146], v[157:158], v[159:160]
	v_mul_f64 v[106:107], v[106:107], s[18:19]
	v_mul_f64 v[114:115], v[114:115], s[24:25]
	v_fma_f64 v[175:176], v[110:111], s[46:47], v[118:119]
	v_add_f64 v[177:178], v[32:33], v[177:178]
	v_fma_f64 v[92:93], v[92:93], s[50:51], v[112:113]
	v_fma_f64 v[110:111], v[110:111], s[46:47], -v[118:119]
	v_add_f64 v[157:158], v[163:164], v[165:166]
	v_mul_f64 v[165:166], v[80:81], s[8:9]
	v_add_f64 v[84:85], v[84:85], v[104:105]
	v_fma_f64 v[104:105], v[64:65], s[52:53], v[189:190]
	v_add_f64 v[112:113], v[191:192], v[155:156]
	v_mul_f64 v[94:95], v[94:95], s[38:39]
	v_add_f64 v[32:33], v[32:33], v[116:117]
	v_mul_f64 v[116:117], v[96:97], s[28:29]
	v_add_f64 v[60:61], v[60:61], v[74:75]
	v_add_f64 v[62:63], v[62:63], v[76:77]
	v_fma_f64 v[74:75], v[90:91], s[42:43], v[167:168]
	v_add_f64 v[76:77], v[86:87], v[88:89]
	v_fma_f64 v[86:87], v[64:65], s[44:45], v[189:190]
	v_add_f64 v[88:89], v[98:99], v[100:101]
	v_fma_f64 v[98:99], v[90:91], s[42:43], -v[167:168]
	v_add_f64 v[100:101], v[143:144], v[145:146]
	v_fma_f64 v[153:154], v[78:79], s[20:21], v[106:107]
	v_mul_f64 v[108:109], v[108:109], s[40:41]
	v_fma_f64 v[159:160], v[102:103], s[18:19], v[114:115]
	v_add_f64 v[163:164], v[175:176], v[177:178]
	v_mul_f64 v[155:156], v[66:67], s[26:27]
	v_fma_f64 v[78:79], v[78:79], s[24:25], v[106:107]
	v_mul_f64 v[106:107], v[82:83], s[36:37]
	v_fma_f64 v[102:103], v[102:103], s[18:19], -v[114:115]
	v_add_f64 v[84:85], v[92:93], v[84:85]
	v_fma_f64 v[92:93], v[48:49], s[14:15], v[165:166]
	v_add_f64 v[104:105], v[104:105], v[112:113]
	v_mul_f64 v[80:81], v[80:81], s[26:27]
	v_add_f64 v[32:33], v[110:111], v[32:33]
	v_fma_f64 v[118:119], v[64:65], s[48:49], v[94:95]
	v_add_f64 v[56:57], v[56:57], v[60:61]
	v_add_f64 v[58:59], v[58:59], v[62:63]
	v_fma_f64 v[60:61], v[70:71], s[8:9], v[116:117]
	v_add_f64 v[62:63], v[74:75], v[76:77]
	v_fma_f64 v[74:75], v[48:49], s[28:29], v[165:166]
	v_add_f64 v[76:77], v[86:87], v[88:89]
	v_fma_f64 v[86:87], v[70:71], s[8:9], -v[116:117]
	v_add_f64 v[88:89], v[98:99], v[100:101]
	v_add_f64 v[143:144], v[153:154], v[157:158]
	v_mul_f64 v[96:97], v[96:97], s[30:31]
	v_fma_f64 v[145:146], v[90:91], s[38:39], v[108:109]
	v_add_f64 v[153:154], v[159:160], v[163:164]
	v_mul_f64 v[114:115], v[50:51], s[18:19]
	v_fma_f64 v[64:65], v[64:65], s[40:41], v[94:95]
	v_mul_f64 v[94:95], v[72:73], s[20:21]
	v_fma_f64 v[90:91], v[90:91], s[38:39], -v[108:109]
	v_add_f64 v[78:79], v[78:79], v[84:85]
	v_fma_f64 v[84:85], v[38:39], s[30:31], v[155:156]
	v_add_f64 v[92:93], v[92:93], v[104:105]
	v_mul_f64 v[66:67], v[66:67], s[16:17]
	v_add_f64 v[32:33], v[102:103], v[32:33]
	v_fma_f64 v[98:99], v[48:49], s[36:37], v[80:81]
	v_add_f64 v[44:45], v[44:45], v[56:57]
	v_add_f64 v[46:47], v[46:47], v[58:59]
	v_fma_f64 v[56:57], v[52:53], s[26:27], v[106:107]
	v_add_f64 v[58:59], v[60:61], v[62:63]
	v_fma_f64 v[60:61], v[38:39], s[36:37], v[155:156]
	v_add_f64 v[62:63], v[74:75], v[76:77]
	v_fma_f64 v[74:75], v[52:53], s[26:27], -v[106:107]
	v_add_f64 v[76:77], v[86:87], v[88:89]
	v_add_f64 v[100:101], v[118:119], v[143:144]
	v_mul_f64 v[219:220], v[50:51], s[38:39]
	v_mul_f64 v[82:83], v[82:83], s[22:23]
	v_fma_f64 v[110:111], v[70:71], s[26:27], v[96:97]
	v_add_f64 v[112:113], v[145:146], v[153:154]
	v_mul_f64 v[205:206], v[72:73], s[40:41]
	v_mul_f64 v[102:103], v[42:43], s[0:1]
	v_fma_f64 v[48:49], v[48:49], s[30:31], v[80:81]
	v_add_f64 v[64:65], v[64:65], v[78:79]
	v_fma_f64 v[78:79], v[26:27], s[24:25], v[114:115]
	v_add_f64 v[80:81], v[84:85], v[92:93]
	v_mul_f64 v[84:85], v[54:55], s[4:5]
	v_fma_f64 v[70:71], v[70:71], s[26:27], -v[96:97]
	v_add_f64 v[32:33], v[90:91], v[32:33]
	v_add_f64 v[30:31], v[30:31], v[44:45]
	;; [unrolled: 1-line block ×3, first 2 shown]
	v_fma_f64 v[44:45], v[40:41], s[18:19], v[94:95]
	v_add_f64 v[46:47], v[56:57], v[58:59]
	v_fma_f64 v[56:57], v[26:27], s[20:21], v[114:115]
	v_add_f64 v[58:59], v[60:61], v[62:63]
	v_fma_f64 v[60:61], v[40:41], s[18:19], -v[94:95]
	v_add_f64 v[62:63], v[74:75], v[76:77]
	v_mul_f64 v[50:51], v[50:51], s[8:9]
	v_fma_f64 v[86:87], v[38:39], s[34:35], v[66:67]
	v_add_f64 v[88:89], v[98:99], v[100:101]
	v_mul_f64 v[235:236], v[42:43], s[8:9]
	v_fma_f64 v[179:180], v[26:27], s[40:41], v[219:220]
	v_mul_f64 v[72:73], v[72:73], s[14:15]
	v_fma_f64 v[98:99], v[52:53], s[16:17], v[82:83]
	v_add_f64 v[100:101], v[110:111], v[112:113]
	v_fma_f64 v[120:121], v[40:41], s[38:39], v[205:206]
	v_mul_f64 v[74:75], v[42:43], s[42:43]
	v_add_f64 v[78:79], v[78:79], v[80:81]
	v_fma_f64 v[80:81], v[22:23], s[0:1], v[84:85]
	v_fma_f64 v[52:53], v[52:53], s[16:17], -v[82:83]
	v_add_f64 v[70:71], v[70:71], v[32:33]
	v_add_f64 v[24:25], v[24:25], v[30:31]
	;; [unrolled: 1-line block ×3, first 2 shown]
	v_mul_f64 v[241:242], v[42:43], s[46:47]
	v_add_f64 v[44:45], v[44:45], v[46:47]
	v_fma_f64 v[46:47], v[16:17], s[4:5], v[102:103]
	v_add_f64 v[56:57], v[56:57], v[58:59]
	v_fma_f64 v[58:59], v[22:23], s[0:1], -v[84:85]
	v_add_f64 v[60:61], v[60:61], v[62:63]
	v_fma_f64 v[42:43], v[26:27], s[28:29], v[50:51]
	v_fma_f64 v[38:39], v[38:39], s[22:23], v[66:67]
	v_add_f64 v[76:77], v[86:87], v[88:89]
	v_fma_f64 v[90:91], v[16:17], s[14:15], v[235:236]
	v_add_f64 v[48:49], v[48:49], v[64:65]
	;; [unrolled: 2-line block ×3, first 2 shown]
	v_add_f64 v[88:89], v[98:99], v[100:101]
	v_mul_f64 v[207:208], v[54:55], s[14:15]
	v_add_f64 v[120:121], v[120:121], v[187:188]
	v_fma_f64 v[187:188], v[40:41], s[38:39], -v[205:206]
	v_mul_f64 v[233:234], v[54:55], s[54:55]
	v_fma_f64 v[169:170], v[16:17], s[30:31], v[169:170]
	v_fma_f64 v[223:224], v[40:41], s[16:17], -v[223:224]
	v_fma_f64 v[247:248], v[26:27], s[48:49], v[219:220]
	v_mul_f64 v[54:55], v[54:55], s[44:45]
	v_fma_f64 v[72:73], v[40:41], s[8:9], -v[72:73]
	v_add_f64 v[40:41], v[80:81], v[44:45]
	v_add_f64 v[24:25], v[18:19], v[24:25]
	;; [unrolled: 1-line block ×5, first 2 shown]
	v_fma_f64 v[57:58], v[16:17], s[44:45], v[74:75]
	v_add_f64 v[70:71], v[20:21], v[36:37]
	v_fma_f64 v[62:63], v[16:17], s[52:53], v[74:75]
	v_add_f64 v[76:77], v[42:43], v[76:77]
	v_add_f64 v[94:95], v[38:39], v[48:49]
	;; [unrolled: 1-line block ×5, first 2 shown]
	v_fma_f64 v[88:89], v[26:27], s[14:15], v[50:51]
	v_mad_u64_u32 v[64:65], null, s2, v138, 0
	v_fma_f64 v[66:67], v[22:23], s[8:9], -v[207:208]
	v_add_f64 v[82:83], v[187:188], v[151:152]
	v_fma_f64 v[201:202], v[22:23], s[46:47], v[233:234]
	v_add_f64 v[130:131], v[169:170], v[171:172]
	v_fma_f64 v[136:137], v[22:23], s[46:47], -v[233:234]
	v_add_f64 v[171:172], v[247:248], v[173:174]
	v_mov_b32_e32 v56, v65
	v_fma_f64 v[173:174], v[22:23], s[8:9], v[207:208]
	v_fma_f64 v[84:85], v[22:23], s[42:43], v[54:55]
	v_fma_f64 v[22:23], v[22:23], s[42:43], -v[54:55]
	v_fma_f64 v[239:240], v[16:17], s[50:51], v[241:242]
	v_mad_u64_u32 v[54:55], null, s3, v138, v[56:57]
	v_add_nc_u32_e32 v56, 17, v138
	v_fma_f64 v[241:242], v[16:17], s[54:55], v[241:242]
	v_fma_f64 v[169:170], v[16:17], s[28:29], v[235:236]
	;; [unrolled: 1-line block ×3, first 2 shown]
	v_add_f64 v[16:17], v[12:13], v[24:25]
	v_lshlrev_b64 v[12:13], 4, v[34:35]
	v_add_f64 v[14:15], v[14:15], v[70:71]
	v_mad_u64_u32 v[34:35], null, s2, v56, 0
	v_fma_f64 v[181:182], v[26:27], s[34:35], v[181:182]
	v_lshlrev_b64 v[24:25], 4, v[68:69]
	v_add_nc_u32_e32 v61, 34, v138
	v_add_f64 v[50:51], v[62:63], v[76:77]
	v_add_co_u32 v62, vcc_lo, s10, v12
	v_add_f64 v[59:60], v[88:89], v[94:95]
	v_add_f64 v[52:53], v[72:73], v[52:53]
	v_mov_b32_e32 v65, v54
	v_add_co_ci_u32_e32 v13, vcc_lo, s11, v13, vcc_lo
	v_mad_u64_u32 v[54:55], null, s2, v61, 0
	v_add_f64 v[36:37], v[66:67], v[82:83]
	v_add_co_u32 v66, vcc_lo, v62, v24
	v_mov_b32_e32 v12, v35
	v_add_co_ci_u32_e32 v67, vcc_lo, v13, v25, vcc_lo
	v_lshlrev_b64 v[24:25], 4, v[64:65]
	v_add_nc_u32_e32 v64, 51, v138
	v_mad_u64_u32 v[12:13], null, s3, v56, v[12:13]
	v_mov_b32_e32 v13, v55
	v_add_f64 v[181:182], v[181:182], v[211:212]
	v_add_co_u32 v55, vcc_lo, v66, v24
	v_add_co_ci_u32_e32 v56, vcc_lo, v67, v25, vcc_lo
	v_mad_u64_u32 v[61:62], null, s3, v61, v[13:14]
	v_mad_u64_u32 v[62:63], null, s2, v64, 0
	global_store_dwordx4 v[55:56], v[14:17], off
	v_add_nc_u32_e32 v56, 0x44, v138
	v_add_f64 v[161:162], v[223:224], v[193:194]
	v_mov_b32_e32 v35, v12
	v_add_f64 v[24:25], v[57:58], v[59:60]
	v_add_f64 v[22:23], v[22:23], v[52:53]
	v_mov_b32_e32 v55, v61
	v_mad_u64_u32 v[15:16], null, s2, v56, 0
	v_lshlrev_b64 v[12:13], 4, v[34:35]
	v_mov_b32_e32 v14, v63
	v_lshlrev_b64 v[34:35], 4, v[54:55]
	v_add_nc_u32_e32 v57, 0x55, v138
	v_add_nc_u32_e32 v58, 0x66, v138
	v_add_f64 v[32:33], v[241:242], v[181:182]
	v_add_co_u32 v12, vcc_lo, v66, v12
	v_mad_u64_u32 v[52:53], null, s3, v64, v[14:15]
	v_mov_b32_e32 v14, v16
	v_add_co_ci_u32_e32 v13, vcc_lo, v67, v13, vcc_lo
	v_mad_u64_u32 v[53:54], null, s2, v57, 0
	v_add_co_u32 v16, vcc_lo, v66, v34
	v_add_co_ci_u32_e32 v17, vcc_lo, v67, v35, vcc_lo
	v_mad_u64_u32 v[34:35], null, s3, v56, v[14:15]
	v_add_f64 v[30:31], v[136:137], v[161:162]
	v_mov_b32_e32 v63, v52
	v_mad_u64_u32 v[55:56], null, s2, v58, 0
	v_mov_b32_e32 v14, v54
	global_store_dwordx4 v[12:13], v[22:25], off
	global_store_dwordx4 v[16:17], v[44:47], off
	v_mov_b32_e32 v16, v34
	v_lshlrev_b64 v[12:13], 4, v[62:63]
	v_add_nc_u32_e32 v34, 0x77, v138
	v_mad_u64_u32 v[22:23], null, s3, v57, v[14:15]
	v_lshlrev_b64 v[15:16], 4, v[15:16]
	v_mov_b32_e32 v14, v56
	v_add_co_u32 v12, vcc_lo, v66, v12
	v_add_co_ci_u32_e32 v13, vcc_lo, v67, v13, vcc_lo
	v_mov_b32_e32 v54, v22
	v_mad_u64_u32 v[22:23], null, s3, v58, v[14:15]
	v_add_co_u32 v14, vcc_lo, v66, v15
	v_add_co_ci_u32_e32 v15, vcc_lo, v67, v16, vcc_lo
	v_mad_u64_u32 v[16:17], null, s2, v34, 0
	global_store_dwordx4 v[12:13], v[36:39], off
	global_store_dwordx4 v[14:15], v[30:33], off
	v_add_nc_u32_e32 v32, 0x88, v138
	v_lshlrev_b64 v[12:13], 4, v[53:54]
	v_mov_b32_e32 v56, v22
	v_add_nc_u32_e32 v35, 0xaa, v138
	v_mov_b32_e32 v14, v17
	v_mad_u64_u32 v[24:25], null, s2, v32, 0
	v_add_co_u32 v12, vcc_lo, v66, v12
	v_mad_u64_u32 v[14:15], null, s3, v34, v[14:15]
	v_add_nc_u32_e32 v34, 0x99, v138
	v_add_co_ci_u32_e32 v13, vcc_lo, v67, v13, vcc_lo
	v_mov_b32_e32 v15, v25
	v_lshlrev_b64 v[22:23], 4, v[55:56]
	v_mad_u64_u32 v[30:31], null, s2, v34, 0
	v_mov_b32_e32 v17, v14
	v_mad_u64_u32 v[32:33], null, s3, v32, v[15:16]
	v_mad_u64_u32 v[14:15], null, s2, v35, 0
	global_store_dwordx4 v[12:13], v[139:142], off
	v_mov_b32_e32 v12, v31
	v_add_co_u32 v22, vcc_lo, v66, v22
	v_add_co_ci_u32_e32 v23, vcc_lo, v67, v23, vcc_lo
	v_mad_u64_u32 v[12:13], null, s3, v34, v[12:13]
	v_mov_b32_e32 v25, v32
	v_mov_b32_e32 v13, v15
	v_lshlrev_b64 v[16:17], 4, v[16:17]
	v_add_nc_u32_e32 v34, 0xbb, v138
	global_store_dwordx4 v[22:23], v[132:135], off
	v_lshlrev_b64 v[22:23], 4, v[24:25]
	v_mad_u64_u32 v[24:25], null, s3, v35, v[13:14]
	v_mad_u64_u32 v[32:33], null, s2, v34, 0
	v_add_co_u32 v16, vcc_lo, v66, v16
	v_add_co_ci_u32_e32 v17, vcc_lo, v67, v17, vcc_lo
	v_mov_b32_e32 v31, v12
	v_add_co_u32 v12, vcc_lo, v66, v22
	v_add_co_ci_u32_e32 v13, vcc_lo, v67, v23, vcc_lo
	v_mov_b32_e32 v15, v24
	global_store_dwordx4 v[16:17], v[128:131], off
	v_mov_b32_e32 v16, v33
	v_lshlrev_b64 v[22:23], 4, v[30:31]
	global_store_dwordx4 v[12:13], v[124:127], off
	v_lshlrev_b64 v[12:13], 4, v[14:15]
	v_add_nc_u32_e32 v25, 0xee, v138
	v_mad_u64_u32 v[14:15], null, s3, v34, v[16:17]
	v_add_co_u32 v15, vcc_lo, v66, v22
	v_add_nc_u32_e32 v17, 0xcc, v138
	v_add_co_ci_u32_e32 v16, vcc_lo, v67, v23, vcc_lo
	v_add_co_u32 v12, vcc_lo, v66, v12
	v_add_co_ci_u32_e32 v13, vcc_lo, v67, v13, vcc_lo
	v_mad_u64_u32 v[22:23], null, s2, v17, 0
	v_mov_b32_e32 v33, v14
	global_store_dwordx4 v[15:16], v[147:150], off
	global_store_dwordx4 v[12:13], v[8:11], off
	v_mad_u64_u32 v[13:14], null, s2, v25, 0
	v_add_nc_u32_e32 v24, 0xdd, v138
	v_mov_b32_e32 v12, v23
	v_lshlrev_b64 v[8:9], 4, v[32:33]
	v_add_nc_u32_e32 v32, 0xff, v138
	v_add_nc_u32_e32 v33, 0x110, v138
	v_mad_u64_u32 v[10:11], null, s2, v24, 0
	v_mad_u64_u32 v[15:16], null, s3, v17, v[12:13]
	v_add_co_u32 v8, vcc_lo, v66, v8
	v_mad_u64_u32 v[16:17], null, s2, v32, 0
	v_add_co_ci_u32_e32 v9, vcc_lo, v67, v9, vcc_lo
	v_mov_b32_e32 v23, v15
	v_mad_u64_u32 v[11:12], null, s3, v24, v[11:12]
	v_mov_b32_e32 v12, v14
	v_mad_u64_u32 v[30:31], null, s2, v33, 0
	global_store_dwordx4 v[8:9], v[4:7], off
	v_lshlrev_b64 v[5:6], 4, v[22:23]
	v_mov_b32_e32 v4, v17
	v_mad_u64_u32 v[24:25], null, s3, v25, v[12:13]
	v_add_f64 v[2:3], v[243:244], v[2:3]
	v_add_f64 v[28:29], v[239:240], v[197:198]
	v_mad_u64_u32 v[7:8], null, s3, v32, v[4:5]
	v_mov_b32_e32 v4, v31
	v_add_co_u32 v5, vcc_lo, v66, v5
	v_mov_b32_e32 v14, v24
	v_lshlrev_b64 v[8:9], 4, v[10:11]
	v_add_f64 v[26:27], v[201:202], v[203:204]
	v_mad_u64_u32 v[10:11], null, s3, v33, v[4:5]
	v_add_f64 v[20:21], v[169:170], v[171:172]
	v_add_f64 v[18:19], v[173:174], v[120:121]
	;; [unrolled: 1-line block ×4, first 2 shown]
	v_lshlrev_b64 v[11:12], 4, v[13:14]
	v_mov_b32_e32 v17, v7
	v_add_co_ci_u32_e32 v6, vcc_lo, v67, v6, vcc_lo
	v_add_co_u32 v7, vcc_lo, v66, v8
	v_mov_b32_e32 v31, v10
	v_add_co_ci_u32_e32 v8, vcc_lo, v67, v9, vcc_lo
	v_lshlrev_b64 v[13:14], 4, v[16:17]
	v_add_co_u32 v9, vcc_lo, v66, v11
	v_add_co_ci_u32_e32 v10, vcc_lo, v67, v12, vcc_lo
	v_lshlrev_b64 v[11:12], 4, v[30:31]
	v_add_co_u32 v13, vcc_lo, v66, v13
	v_add_co_ci_u32_e32 v14, vcc_lo, v67, v14, vcc_lo
	v_add_co_u32 v11, vcc_lo, v66, v11
	v_add_co_ci_u32_e32 v12, vcc_lo, v67, v12, vcc_lo
	global_store_dwordx4 v[5:6], v[0:3], off
	global_store_dwordx4 v[7:8], v[26:29], off
	;; [unrolled: 1-line block ×5, first 2 shown]
.LBB0_14:
	s_endpgm
	.section	.rodata,"a",@progbits
	.p2align	6, 0x0
	.amdhsa_kernel fft_rtc_fwd_len289_factors_17_17_wgs_119_tpt_17_halfLds_dp_op_CI_CI_sbrr_dirReg
		.amdhsa_group_segment_fixed_size 0
		.amdhsa_private_segment_fixed_size 0
		.amdhsa_kernarg_size 104
		.amdhsa_user_sgpr_count 6
		.amdhsa_user_sgpr_private_segment_buffer 1
		.amdhsa_user_sgpr_dispatch_ptr 0
		.amdhsa_user_sgpr_queue_ptr 0
		.amdhsa_user_sgpr_kernarg_segment_ptr 1
		.amdhsa_user_sgpr_dispatch_id 0
		.amdhsa_user_sgpr_flat_scratch_init 0
		.amdhsa_user_sgpr_private_segment_size 0
		.amdhsa_wavefront_size32 1
		.amdhsa_uses_dynamic_stack 0
		.amdhsa_system_sgpr_private_segment_wavefront_offset 0
		.amdhsa_system_sgpr_workgroup_id_x 1
		.amdhsa_system_sgpr_workgroup_id_y 0
		.amdhsa_system_sgpr_workgroup_id_z 0
		.amdhsa_system_sgpr_workgroup_info 0
		.amdhsa_system_vgpr_workitem_id 0
		.amdhsa_next_free_vgpr 255
		.amdhsa_next_free_sgpr 58
		.amdhsa_reserve_vcc 1
		.amdhsa_reserve_flat_scratch 0
		.amdhsa_float_round_mode_32 0
		.amdhsa_float_round_mode_16_64 0
		.amdhsa_float_denorm_mode_32 3
		.amdhsa_float_denorm_mode_16_64 3
		.amdhsa_dx10_clamp 1
		.amdhsa_ieee_mode 1
		.amdhsa_fp16_overflow 0
		.amdhsa_workgroup_processor_mode 1
		.amdhsa_memory_ordered 1
		.amdhsa_forward_progress 0
		.amdhsa_shared_vgpr_count 0
		.amdhsa_exception_fp_ieee_invalid_op 0
		.amdhsa_exception_fp_denorm_src 0
		.amdhsa_exception_fp_ieee_div_zero 0
		.amdhsa_exception_fp_ieee_overflow 0
		.amdhsa_exception_fp_ieee_underflow 0
		.amdhsa_exception_fp_ieee_inexact 0
		.amdhsa_exception_int_div_zero 0
	.end_amdhsa_kernel
	.text
.Lfunc_end0:
	.size	fft_rtc_fwd_len289_factors_17_17_wgs_119_tpt_17_halfLds_dp_op_CI_CI_sbrr_dirReg, .Lfunc_end0-fft_rtc_fwd_len289_factors_17_17_wgs_119_tpt_17_halfLds_dp_op_CI_CI_sbrr_dirReg
                                        ; -- End function
	.section	.AMDGPU.csdata,"",@progbits
; Kernel info:
; codeLenInByte = 16300
; NumSgprs: 60
; NumVgprs: 255
; ScratchSize: 0
; MemoryBound: 1
; FloatMode: 240
; IeeeMode: 1
; LDSByteSize: 0 bytes/workgroup (compile time only)
; SGPRBlocks: 7
; VGPRBlocks: 31
; NumSGPRsForWavesPerEU: 60
; NumVGPRsForWavesPerEU: 255
; Occupancy: 4
; WaveLimiterHint : 1
; COMPUTE_PGM_RSRC2:SCRATCH_EN: 0
; COMPUTE_PGM_RSRC2:USER_SGPR: 6
; COMPUTE_PGM_RSRC2:TRAP_HANDLER: 0
; COMPUTE_PGM_RSRC2:TGID_X_EN: 1
; COMPUTE_PGM_RSRC2:TGID_Y_EN: 0
; COMPUTE_PGM_RSRC2:TGID_Z_EN: 0
; COMPUTE_PGM_RSRC2:TIDIG_COMP_CNT: 0
	.text
	.p2alignl 6, 3214868480
	.fill 48, 4, 3214868480
	.type	__hip_cuid_6d5b9bf38cfdb66b,@object ; @__hip_cuid_6d5b9bf38cfdb66b
	.section	.bss,"aw",@nobits
	.globl	__hip_cuid_6d5b9bf38cfdb66b
__hip_cuid_6d5b9bf38cfdb66b:
	.byte	0                               ; 0x0
	.size	__hip_cuid_6d5b9bf38cfdb66b, 1

	.ident	"AMD clang version 19.0.0git (https://github.com/RadeonOpenCompute/llvm-project roc-6.4.0 25133 c7fe45cf4b819c5991fe208aaa96edf142730f1d)"
	.section	".note.GNU-stack","",@progbits
	.addrsig
	.addrsig_sym __hip_cuid_6d5b9bf38cfdb66b
	.amdgpu_metadata
---
amdhsa.kernels:
  - .args:
      - .actual_access:  read_only
        .address_space:  global
        .offset:         0
        .size:           8
        .value_kind:     global_buffer
      - .offset:         8
        .size:           8
        .value_kind:     by_value
      - .actual_access:  read_only
        .address_space:  global
        .offset:         16
        .size:           8
        .value_kind:     global_buffer
      - .actual_access:  read_only
        .address_space:  global
        .offset:         24
        .size:           8
        .value_kind:     global_buffer
      - .actual_access:  read_only
        .address_space:  global
        .offset:         32
        .size:           8
        .value_kind:     global_buffer
      - .offset:         40
        .size:           8
        .value_kind:     by_value
      - .actual_access:  read_only
        .address_space:  global
        .offset:         48
        .size:           8
        .value_kind:     global_buffer
      - .actual_access:  read_only
        .address_space:  global
        .offset:         56
        .size:           8
        .value_kind:     global_buffer
      - .offset:         64
        .size:           4
        .value_kind:     by_value
      - .actual_access:  read_only
        .address_space:  global
        .offset:         72
        .size:           8
        .value_kind:     global_buffer
      - .actual_access:  read_only
        .address_space:  global
        .offset:         80
        .size:           8
        .value_kind:     global_buffer
      - .actual_access:  read_only
        .address_space:  global
        .offset:         88
        .size:           8
        .value_kind:     global_buffer
      - .actual_access:  write_only
        .address_space:  global
        .offset:         96
        .size:           8
        .value_kind:     global_buffer
    .group_segment_fixed_size: 0
    .kernarg_segment_align: 8
    .kernarg_segment_size: 104
    .language:       OpenCL C
    .language_version:
      - 2
      - 0
    .max_flat_workgroup_size: 119
    .name:           fft_rtc_fwd_len289_factors_17_17_wgs_119_tpt_17_halfLds_dp_op_CI_CI_sbrr_dirReg
    .private_segment_fixed_size: 0
    .sgpr_count:     60
    .sgpr_spill_count: 0
    .symbol:         fft_rtc_fwd_len289_factors_17_17_wgs_119_tpt_17_halfLds_dp_op_CI_CI_sbrr_dirReg.kd
    .uniform_work_group_size: 1
    .uses_dynamic_stack: false
    .vgpr_count:     255
    .vgpr_spill_count: 0
    .wavefront_size: 32
    .workgroup_processor_mode: 1
amdhsa.target:   amdgcn-amd-amdhsa--gfx1030
amdhsa.version:
  - 1
  - 2
...

	.end_amdgpu_metadata
